;; amdgpu-corpus repo=ROCm/rocFFT kind=compiled arch=gfx950 opt=O3
	.text
	.amdgcn_target "amdgcn-amd-amdhsa--gfx950"
	.amdhsa_code_object_version 6
	.protected	fft_rtc_back_len507_factors_13_3_13_wgs_117_tpt_39_halfLds_sp_op_CI_CI_unitstride_sbrr_dirReg ; -- Begin function fft_rtc_back_len507_factors_13_3_13_wgs_117_tpt_39_halfLds_sp_op_CI_CI_unitstride_sbrr_dirReg
	.globl	fft_rtc_back_len507_factors_13_3_13_wgs_117_tpt_39_halfLds_sp_op_CI_CI_unitstride_sbrr_dirReg
	.p2align	8
	.type	fft_rtc_back_len507_factors_13_3_13_wgs_117_tpt_39_halfLds_sp_op_CI_CI_unitstride_sbrr_dirReg,@function
fft_rtc_back_len507_factors_13_3_13_wgs_117_tpt_39_halfLds_sp_op_CI_CI_unitstride_sbrr_dirReg: ; @fft_rtc_back_len507_factors_13_3_13_wgs_117_tpt_39_halfLds_sp_op_CI_CI_unitstride_sbrr_dirReg
; %bb.0:
	s_load_dwordx4 s[4:7], s[0:1], 0x58
	s_load_dwordx4 s[8:11], s[0:1], 0x0
	;; [unrolled: 1-line block ×3, first 2 shown]
	v_mul_u32_u24_e32 v1, 0x691, v0
	v_lshrrev_b32_e32 v2, 16, v1
	v_mad_u64_u32 v[36:37], s[2:3], s2, 3, v[2:3]
	v_mov_b32_e32 v6, 0
	v_mov_b32_e32 v37, v6
	s_waitcnt lgkmcnt(0)
	v_cmp_lt_u64_e64 s[2:3], s[10:11], 2
	v_mov_b64_e32 v[38:39], 0
	s_and_b64 vcc, exec, s[2:3]
	v_mov_b64_e32 v[2:3], v[38:39]
	v_mov_b64_e32 v[4:5], v[36:37]
	s_cbranch_vccnz .LBB0_8
; %bb.1:
	s_load_dwordx2 s[2:3], s[0:1], 0x10
	s_add_u32 s16, s14, 8
	s_addc_u32 s17, s15, 0
	s_add_u32 s18, s12, 8
	s_addc_u32 s19, s13, 0
	s_waitcnt lgkmcnt(0)
	s_add_u32 s20, s2, 8
	v_mov_b64_e32 v[38:39], 0
	s_addc_u32 s21, s3, 0
	s_mov_b64 s[22:23], 1
	v_mov_b64_e32 v[2:3], v[38:39]
	v_mov_b64_e32 v[8:9], v[36:37]
.LBB0_2:                                ; =>This Inner Loop Header: Depth=1
	s_load_dwordx2 s[24:25], s[20:21], 0x0
                                        ; implicit-def: $vgpr4_vgpr5
	s_waitcnt lgkmcnt(0)
	v_or_b32_e32 v7, s25, v9
	v_cmp_ne_u64_e32 vcc, 0, v[6:7]
	s_and_saveexec_b64 s[2:3], vcc
	s_xor_b64 s[26:27], exec, s[2:3]
	s_cbranch_execz .LBB0_4
; %bb.3:                                ;   in Loop: Header=BB0_2 Depth=1
	v_cvt_f32_u32_e32 v1, s24
	v_cvt_f32_u32_e32 v4, s25
	s_sub_u32 s2, 0, s24
	s_subb_u32 s3, 0, s25
	v_fmac_f32_e32 v1, 0x4f800000, v4
	v_rcp_f32_e32 v1, v1
	s_nop 0
	v_mul_f32_e32 v1, 0x5f7ffffc, v1
	v_mul_f32_e32 v4, 0x2f800000, v1
	v_trunc_f32_e32 v4, v4
	v_fmac_f32_e32 v1, 0xcf800000, v4
	v_cvt_u32_f32_e32 v7, v4
	v_cvt_u32_f32_e32 v1, v1
	v_mul_lo_u32 v4, s2, v7
	v_mul_hi_u32 v10, s2, v1
	v_mul_lo_u32 v5, s3, v1
	v_add_u32_e32 v10, v10, v4
	v_mul_lo_u32 v12, s2, v1
	v_add_u32_e32 v13, v10, v5
	v_mul_hi_u32 v4, v1, v12
	v_mul_hi_u32 v11, v1, v13
	v_mul_lo_u32 v10, v1, v13
	v_mov_b32_e32 v5, v6
	v_lshl_add_u64 v[4:5], v[4:5], 0, v[10:11]
	v_mul_hi_u32 v11, v7, v12
	v_mul_lo_u32 v12, v7, v12
	v_add_co_u32_e32 v4, vcc, v4, v12
	v_mul_hi_u32 v10, v7, v13
	s_nop 0
	v_addc_co_u32_e32 v4, vcc, v5, v11, vcc
	v_mov_b32_e32 v5, v6
	s_nop 0
	v_addc_co_u32_e32 v11, vcc, 0, v10, vcc
	v_mul_lo_u32 v10, v7, v13
	v_lshl_add_u64 v[4:5], v[4:5], 0, v[10:11]
	v_add_co_u32_e32 v1, vcc, v1, v4
	v_mul_lo_u32 v10, s2, v1
	s_nop 0
	v_addc_co_u32_e32 v7, vcc, v7, v5, vcc
	v_mul_lo_u32 v4, s2, v7
	v_mul_hi_u32 v5, s2, v1
	v_add_u32_e32 v4, v5, v4
	v_mul_lo_u32 v5, s3, v1
	v_add_u32_e32 v12, v4, v5
	v_mul_hi_u32 v14, v7, v10
	v_mul_lo_u32 v15, v7, v10
	v_mul_hi_u32 v5, v1, v12
	v_mul_lo_u32 v4, v1, v12
	v_mul_hi_u32 v10, v1, v10
	v_mov_b32_e32 v11, v6
	v_lshl_add_u64 v[4:5], v[10:11], 0, v[4:5]
	v_add_co_u32_e32 v4, vcc, v4, v15
	v_mul_hi_u32 v13, v7, v12
	s_nop 0
	v_addc_co_u32_e32 v4, vcc, v5, v14, vcc
	v_mul_lo_u32 v10, v7, v12
	s_nop 0
	v_addc_co_u32_e32 v11, vcc, 0, v13, vcc
	v_mov_b32_e32 v5, v6
	v_lshl_add_u64 v[4:5], v[4:5], 0, v[10:11]
	v_add_co_u32_e32 v1, vcc, v1, v4
	v_mul_hi_u32 v10, v8, v1
	s_nop 0
	v_addc_co_u32_e32 v7, vcc, v7, v5, vcc
	v_mad_u64_u32 v[4:5], s[2:3], v8, v7, 0
	v_mov_b32_e32 v11, v6
	v_lshl_add_u64 v[4:5], v[10:11], 0, v[4:5]
	v_mad_u64_u32 v[12:13], s[2:3], v9, v1, 0
	v_add_co_u32_e32 v1, vcc, v4, v12
	v_mad_u64_u32 v[10:11], s[2:3], v9, v7, 0
	s_nop 0
	v_addc_co_u32_e32 v4, vcc, v5, v13, vcc
	v_mov_b32_e32 v5, v6
	s_nop 0
	v_addc_co_u32_e32 v11, vcc, 0, v11, vcc
	v_lshl_add_u64 v[4:5], v[4:5], 0, v[10:11]
	v_mul_lo_u32 v1, s25, v4
	v_mul_lo_u32 v7, s24, v5
	v_mad_u64_u32 v[10:11], s[2:3], s24, v4, 0
	v_add3_u32 v1, v11, v7, v1
	v_sub_u32_e32 v7, v9, v1
	v_mov_b32_e32 v11, s25
	v_sub_co_u32_e32 v14, vcc, v8, v10
	v_lshl_add_u64 v[12:13], v[4:5], 0, 1
	s_nop 0
	v_subb_co_u32_e64 v7, s[2:3], v7, v11, vcc
	v_subrev_co_u32_e64 v10, s[2:3], s24, v14
	v_subb_co_u32_e32 v1, vcc, v9, v1, vcc
	s_nop 0
	v_subbrev_co_u32_e64 v7, s[2:3], 0, v7, s[2:3]
	v_cmp_le_u32_e64 s[2:3], s25, v7
	v_cmp_le_u32_e32 vcc, s25, v1
	s_nop 0
	v_cndmask_b32_e64 v11, 0, -1, s[2:3]
	v_cmp_le_u32_e64 s[2:3], s24, v10
	s_nop 1
	v_cndmask_b32_e64 v10, 0, -1, s[2:3]
	v_cmp_eq_u32_e64 s[2:3], s25, v7
	s_nop 1
	v_cndmask_b32_e64 v7, v11, v10, s[2:3]
	v_lshl_add_u64 v[10:11], v[4:5], 0, 2
	v_cmp_ne_u32_e64 s[2:3], 0, v7
	s_nop 1
	v_cndmask_b32_e64 v7, v13, v11, s[2:3]
	v_cndmask_b32_e64 v11, 0, -1, vcc
	v_cmp_le_u32_e32 vcc, s24, v14
	s_nop 1
	v_cndmask_b32_e64 v13, 0, -1, vcc
	v_cmp_eq_u32_e32 vcc, s25, v1
	s_nop 1
	v_cndmask_b32_e32 v1, v11, v13, vcc
	v_cmp_ne_u32_e32 vcc, 0, v1
	v_cndmask_b32_e64 v1, v12, v10, s[2:3]
	s_nop 0
	v_cndmask_b32_e32 v5, v5, v7, vcc
	v_cndmask_b32_e32 v4, v4, v1, vcc
.LBB0_4:                                ;   in Loop: Header=BB0_2 Depth=1
	s_andn2_saveexec_b64 s[2:3], s[26:27]
	s_cbranch_execz .LBB0_6
; %bb.5:                                ;   in Loop: Header=BB0_2 Depth=1
	v_cvt_f32_u32_e32 v1, s24
	s_sub_i32 s26, 0, s24
	v_rcp_iflag_f32_e32 v1, v1
	s_nop 0
	v_mul_f32_e32 v1, 0x4f7ffffe, v1
	v_cvt_u32_f32_e32 v1, v1
	v_mul_lo_u32 v4, s26, v1
	v_mul_hi_u32 v4, v1, v4
	v_add_u32_e32 v1, v1, v4
	v_mul_hi_u32 v1, v8, v1
	v_mul_lo_u32 v4, v1, s24
	v_sub_u32_e32 v4, v8, v4
	v_add_u32_e32 v5, 1, v1
	v_subrev_u32_e32 v7, s24, v4
	v_cmp_le_u32_e32 vcc, s24, v4
	s_nop 1
	v_cndmask_b32_e32 v4, v4, v7, vcc
	v_cndmask_b32_e32 v1, v1, v5, vcc
	v_add_u32_e32 v5, 1, v1
	v_cmp_le_u32_e32 vcc, s24, v4
	s_nop 1
	v_cndmask_b32_e32 v4, v1, v5, vcc
	v_mov_b32_e32 v5, v6
.LBB0_6:                                ;   in Loop: Header=BB0_2 Depth=1
	s_or_b64 exec, exec, s[2:3]
	v_mad_u64_u32 v[10:11], s[2:3], v4, s24, 0
	s_load_dwordx2 s[2:3], s[18:19], 0x0
	v_mul_lo_u32 v1, v5, s24
	v_mul_lo_u32 v7, v4, s25
	s_load_dwordx2 s[24:25], s[16:17], 0x0
	s_add_u32 s22, s22, 1
	v_add3_u32 v1, v11, v7, v1
	v_sub_co_u32_e32 v7, vcc, v8, v10
	s_addc_u32 s23, s23, 0
	s_nop 0
	v_subb_co_u32_e32 v1, vcc, v9, v1, vcc
	s_add_u32 s16, s16, 8
	s_waitcnt lgkmcnt(0)
	v_mul_lo_u32 v8, s2, v1
	v_mul_lo_u32 v9, s3, v7
	v_mad_u64_u32 v[38:39], s[2:3], s2, v7, v[38:39]
	s_addc_u32 s17, s17, 0
	v_add3_u32 v39, v9, v39, v8
	v_mul_lo_u32 v1, s24, v1
	v_mul_lo_u32 v8, s25, v7
	v_mad_u64_u32 v[2:3], s[2:3], s24, v7, v[2:3]
	s_add_u32 s18, s18, 8
	v_add3_u32 v3, v8, v3, v1
	s_addc_u32 s19, s19, 0
	v_mov_b64_e32 v[8:9], s[10:11]
	s_add_u32 s20, s20, 8
	v_cmp_ge_u64_e32 vcc, s[22:23], v[8:9]
	s_addc_u32 s21, s21, 0
	s_cbranch_vccnz .LBB0_8
; %bb.7:                                ;   in Loop: Header=BB0_2 Depth=1
	v_mov_b64_e32 v[8:9], v[4:5]
	s_branch .LBB0_2
.LBB0_8:
	s_load_dwordx2 s[0:1], s[0:1], 0x28
	s_lshl_b64 s[10:11], s[10:11], 3
	s_add_u32 s2, s14, s10
	s_addc_u32 s3, s15, s11
                                        ; implicit-def: $sgpr14_sgpr15
                                        ; implicit-def: $vgpr8
	s_waitcnt lgkmcnt(0)
	v_cmp_gt_u64_e32 vcc, s[0:1], v[4:5]
	v_cmp_le_u64_e64 s[0:1], s[0:1], v[4:5]
	s_and_saveexec_b64 s[16:17], s[0:1]
	s_xor_b64 s[0:1], exec, s[16:17]
; %bb.9:
	s_mov_b32 s14, 0x6906907
	v_mul_hi_u32 v1, v0, s14
	v_mul_u32_u24_e32 v1, 39, v1
	v_sub_u32_e32 v8, v0, v1
	s_mov_b64 s[14:15], 0
                                        ; implicit-def: $vgpr0
                                        ; implicit-def: $vgpr38_vgpr39
; %bb.10:
	s_or_saveexec_b64 s[0:1], s[0:1]
	v_mov_b64_e32 v[6:7], s[14:15]
	v_mov_b64_e32 v[10:11], s[14:15]
                                        ; implicit-def: $vgpr28
                                        ; implicit-def: $vgpr30
                                        ; implicit-def: $vgpr32
                                        ; implicit-def: $vgpr34
                                        ; implicit-def: $vgpr26
                                        ; implicit-def: $vgpr22
                                        ; implicit-def: $vgpr12
                                        ; implicit-def: $vgpr14
                                        ; implicit-def: $vgpr16
                                        ; implicit-def: $vgpr18
                                        ; implicit-def: $vgpr20
                                        ; implicit-def: $vgpr24
	s_xor_b64 exec, exec, s[0:1]
	s_cbranch_execz .LBB0_12
; %bb.11:
	s_add_u32 s10, s12, s10
	s_addc_u32 s11, s13, s11
	s_load_dwordx2 s[10:11], s[10:11], 0x0
	s_mov_b32 s12, 0x6906907
	v_mov_b32_e32 v9, 0
	s_waitcnt lgkmcnt(0)
	v_mul_lo_u32 v1, s11, v4
	v_mul_lo_u32 v8, s10, v5
	v_mad_u64_u32 v[6:7], s[10:11], s10, v4, 0
	v_add3_u32 v7, v7, v8, v1
	v_mul_hi_u32 v1, v0, s12
	v_mul_u32_u24_e32 v1, 39, v1
	v_sub_u32_e32 v8, v0, v1
	v_lshl_add_u64 v[0:1], v[6:7], 3, s[4:5]
	v_lshl_add_u64 v[0:1], v[38:39], 3, v[0:1]
	v_lshlrev_b32_e32 v6, 3, v8
	v_mov_b32_e32 v7, v9
	v_lshl_add_u64 v[0:1], v[0:1], 0, v[6:7]
	global_load_dwordx2 v[10:11], v[0:1], off
	global_load_dwordx2 v[38:39], v[0:1], off offset:312
	global_load_dwordx2 v[32:33], v[0:1], off offset:624
	;; [unrolled: 1-line block ×12, first 2 shown]
	v_mov_b64_e32 v[6:7], v[8:9]
	s_waitcnt vmcnt(11)
	v_mov_b32_e32 v29, v39
	s_waitcnt vmcnt(8)
	v_mov_b32_e32 v28, v31
	v_mov_b32_e32 v31, v38
.LBB0_12:
	s_or_b64 exec, exec, s[0:1]
	s_mov_b32 s0, 0xaaaaaaab
	v_mul_hi_u32 v0, v36, s0
	v_lshrrev_b32_e32 v0, 1, v0
	v_lshl_add_u32 v0, v0, 1, v0
	v_sub_u32_e32 v78, v36, v0
	v_add_f32_e32 v0, v31, v10
	v_add_f32_e32 v0, v32, v0
	s_mov_b32 s4, 0x3df6dbef
	v_add_f32_e32 v50, v34, v0
	s_waitcnt vmcnt(1)
	v_pk_add_f32 v[36:37], v[32:33], v[14:15] neg_lo:[0,1] neg_hi:[0,1]
	v_pk_add_f32 v[0:1], v[32:33], v[14:15]
	s_mov_b32 s5, 0x3f116cb1
	s_mov_b32 s12, 0xbf6f5d39
	v_mov_b32_e32 v38, v37
	v_mov_b32_e32 v39, v0
	s_mov_b32 s14, 0xbf52af12
	s_mov_b32 s15, s5
	;; [unrolled: 1-line block ×3, first 2 shown]
	s_waitcnt vmcnt(0)
	v_pk_add_f32 v[48:49], v[28:29], v[12:13] neg_lo:[0,1] neg_hi:[0,1]
	s_mov_b32 s13, 0xbe750f2a
	v_pk_mul_f32 v[46:47], v[38:39], s[14:15]
	s_mov_b32 s10, 0xbf3f9e67
	s_mov_b32 s16, 0x3f29c268
	;; [unrolled: 1-line block ×4, first 2 shown]
	v_mov_b32_e32 v51, v12
	s_mov_b32 s30, s12
	s_mov_b32 s31, s19
	v_mov_b32_e32 v9, v46
	s_mov_b32 s11, 0x3f62ad3f
	s_mov_b32 s17, 0x3eedf032
	;; [unrolled: 1-line block ×3, first 2 shown]
	v_pk_add_f32 v[50:51], v[30:31], v[50:51]
	v_pk_mul_f32 v[54:55], v[48:49], s[30:31] op_sel:[1,0]
	s_mov_b32 s34, s16
	s_mov_b32 s35, s22
	;; [unrolled: 1-line block ×4, first 2 shown]
	v_pk_fma_f32 v[52:53], v[38:39], s[14:15], v[8:9]
	v_pk_add_f32 v[40:41], v[34:35], v[16:17] neg_lo:[0,1] neg_hi:[0,1]
	s_mov_b32 s15, 0xbf7e222b
	v_mov_b32_e32 v42, v30
	v_mov_b32_e32 v43, v28
	s_mov_b32 s24, s10
	s_mov_b32 s25, s4
	v_pk_mul_f32 v[56:57], v[36:37], s[34:35] op_sel:[1,0]
	s_mov_b32 s36, s17
	s_mov_b32 s37, s14
	v_pk_fma_f32 v[60:61], v[50:51], s[40:41], v[54:55] op_sel:[1,0,0] neg_lo:[0,0,1] neg_hi:[0,0,1]
	v_pk_add_f32 v[38:39], v[34:35], v[16:17]
	v_pk_add_f32 v[44:45], v[42:43], v[18:19] neg_lo:[0,1] neg_hi:[0,1]
	s_mov_b32 s26, s11
	s_mov_b32 s27, s5
	v_pk_mul_f32 v[68:69], v[40:41], s[36:37] op_sel:[1,0]
	s_mov_b32 s39, 0x3e750f2a
	s_mov_b32 s38, s15
	v_pk_fma_f32 v[58:59], v[0:1], s[24:25], v[56:57] op_sel_hi:[0,1,1] neg_lo:[0,0,1] neg_hi:[0,0,1]
	v_pk_add_f32 v[60:61], v[60:61], v[10:11] op_sel_hi:[1,0]
	v_pk_add_f32 v[42:43], v[42:43], v[18:19]
	s_mov_b32 s28, s4
	s_mov_b32 s29, s21
	v_pk_add_f32 v[58:59], v[58:59], v[60:61]
	v_pk_fma_f32 v[60:61], v[38:39], s[26:27], v[68:69] op_sel_hi:[0,1,1] neg_lo:[0,0,1] neg_hi:[0,0,1]
	v_pk_mul_f32 v[70:71], v[44:45], s[38:39] op_sel:[1,0]
	v_pk_add_f32 v[58:59], v[60:61], v[58:59]
	v_pk_fma_f32 v[60:61], v[42:43], s[28:29], v[70:71] op_sel_hi:[0,1,1] neg_lo:[0,0,1] neg_hi:[0,0,1]
	s_mov_b32 s46, s39
	s_mov_b32 s47, s17
	v_pk_add_f32 v[64:65], v[26:27], v[20:21] neg_lo:[0,1] neg_hi:[0,1]
	v_pk_add_f32 v[60:61], v[60:61], v[58:59]
	s_mov_b32 s42, s21
	s_mov_b32 s43, s11
	v_pk_add_f32 v[58:59], v[26:27], v[20:21]
	v_pk_mul_f32 v[72:73], v[64:65], s[46:47] op_sel:[1,0]
	s_mov_b32 s48, 0x3f52af12
	v_pk_fma_f32 v[62:63], v[58:59], s[42:43], v[72:73] op_sel_hi:[0,1,1] neg_lo:[0,0,1] neg_hi:[0,0,1]
	v_pk_add_f32 v[66:67], v[62:63], v[60:61]
	s_mov_b32 s49, s12
	v_pk_add_f32 v[60:61], v[22:23], v[24:25] neg_lo:[0,1] neg_hi:[0,1]
	s_mov_b32 s44, s5
	s_mov_b32 s45, s20
	v_pk_add_f32 v[62:63], v[22:23], v[24:25]
	v_pk_mul_f32 v[74:75], v[60:61], s[48:49] op_sel:[1,0]
	v_mul_u32_u24_e32 v32, 0x1fb, v78
	v_pk_fma_f32 v[76:77], v[62:63], s[44:45], v[74:75] op_sel_hi:[0,1,1] neg_lo:[0,0,1] neg_hi:[0,0,1]
	v_lshl_add_u32 v100, v32, 2, 0
	v_pk_add_f32 v[66:67], v[76:77], v[66:67]
	v_mad_u32_u24 v34, v8, 52, v100
	ds_write2_b32 v34, v67, v66 offset0:8 offset1:9
	v_mov_b32_e32 v66, v41
	v_mov_b32_e32 v67, v38
	s_mov_b32 s0, s15
	s_mov_b32 s1, s4
	v_pk_mul_f32 v[76:77], v[66:67], s[0:1]
	v_pk_fma_f32 v[54:55], v[50:51], s[40:41], v[54:55] op_sel:[1,0,0]
	v_mov_b32_e32 v9, v76
	v_pk_fma_f32 v[78:79], v[66:67], s[0:1], v[8:9]
	v_mov_b32_e32 v66, v45
	v_mov_b32_e32 v67, v42
	s_mov_b32 s0, s12
	s_mov_b32 s1, s20
	v_pk_mul_f32 v[80:81], v[66:67], s[0:1]
	v_pk_fma_f32 v[56:57], v[0:1], s[24:25], v[56:57] op_sel_hi:[0,1,1]
	v_mov_b32_e32 v9, v80
	v_pk_fma_f32 v[82:83], v[66:67], s[0:1], v[8:9]
	v_mov_b32_e32 v66, v65
	v_mov_b32_e32 v67, v58
	s_mov_b32 s0, s19
	s_mov_b32 s1, s10
	v_pk_mul_f32 v[84:85], v[66:67], s[0:1]
	v_pk_add_f32 v[54:55], v[54:55], v[10:11] op_sel_hi:[1,0]
	v_mov_b32_e32 v9, v84
	v_pk_fma_f32 v[86:87], v[66:67], s[0:1], v[8:9]
	v_mov_b32_e32 v66, v61
	v_mov_b32_e32 v67, v62
	s_mov_b32 s0, s13
	s_mov_b32 s1, s21
	v_pk_mul_f32 v[88:89], v[66:67], s[0:1]
	v_pk_add_f32 v[54:55], v[56:57], v[54:55]
	v_mov_b32_e32 v9, v88
	v_pk_fma_f32 v[90:91], v[66:67], s[0:1], v[8:9]
	v_mov_b32_e32 v67, 0x3f62ad3f
	v_mov_b32_e32 v66, v26
	v_pk_fma_f32 v[56:57], v[38:39], s[26:27], v[68:69] op_sel_hi:[0,1,1]
	v_pk_add_f32 v[92:93], v[26:27], v[50:51]
	v_pk_mul_f32 v[94:95], v[66:67], v[50:51]
	v_pk_add_f32 v[54:55], v[56:57], v[54:55]
	v_pk_fma_f32 v[56:57], v[42:43], s[28:29], v[70:71] op_sel_hi:[0,1,1]
	v_mov_b32_e32 v93, v95
	v_mul_f32_e32 v97, 0xbeedf032, v49
	v_mov_b32_e32 v96, v22
	v_pk_add_f32 v[54:55], v[56:57], v[54:55]
	v_pk_fma_f32 v[56:57], v[58:59], s[42:43], v[72:73] op_sel_hi:[0,1,1]
	v_pk_add_f32 v[92:93], v[96:97], v[92:93]
	v_mov_b32_e32 v96, v24
	v_mov_b32_e32 v97, v10
	v_pk_add_f32 v[54:55], v[56:57], v[54:55]
	v_pk_fma_f32 v[56:57], v[62:63], s[44:45], v[74:75] op_sel_hi:[0,1,1]
	v_pk_add_f32 v[92:93], v[96:97], v[92:93]
	v_mov_b32_e32 v52, v20
	v_mov_b32_e32 v82, v16
	v_mov_b32_e32 v86, v14
	v_pk_add_f32 v[54:55], v[56:57], v[54:55]
	v_mul_f32_e32 v14, 0x3f62ad3f, v0
	v_mul_f32_e32 v16, 0x3eedf032, v37
	v_pk_add_f32 v[52:53], v[52:53], v[92:93]
	v_mov_b32_e32 v78, v18
	ds_write2_b32 v34, v54, v55 offset0:4 offset1:5
	v_pk_add_f32 v[54:55], v[14:15], v[16:17]
	v_pk_add_f32 v[56:57], v[14:15], v[16:17] neg_lo:[0,1] neg_hi:[0,1]
	v_mul_f32_e32 v14, 0xbf3f9e67, v38
	v_mul_f32_e32 v16, 0xbf29c268, v41
	v_pk_add_f32 v[52:53], v[78:79], v[52:53]
	v_mov_b32_e32 v55, v56
	v_pk_add_f32 v[56:57], v[14:15], v[16:17]
	v_pk_add_f32 v[68:69], v[14:15], v[16:17] neg_lo:[0,1] neg_hi:[0,1]
	v_mul_f32_e32 v14, 0x3f116cb1, v42
	v_mul_f32_e32 v16, 0x3f52af12, v45
	v_pk_add_f32 v[52:53], v[82:83], v[52:53]
	v_mov_b32_e32 v57, v68
	;; [unrolled: 6-line block ×3, first 2 shown]
	v_mov_b32_e32 v69, v70
	v_pk_add_f32 v[70:71], v[14:15], v[16:17]
	v_pk_add_f32 v[72:73], v[14:15], v[16:17] neg_lo:[0,1] neg_hi:[0,1]
	v_mul_f32_e32 v14, 0x3df6dbef, v62
	v_mul_f32_e32 v16, 0x3f7e222b, v61
	v_pk_add_f32 v[52:53], v[90:91], v[52:53]
	v_mov_b32_e32 v71, v72
	v_pk_add_f32 v[72:73], v[14:15], v[16:17]
	v_pk_add_f32 v[74:75], v[14:15], v[16:17] neg_lo:[0,1] neg_hi:[0,1]
	v_mul_f32_e32 v14, 0xbe750f2a, v49
	v_mul_f32_e32 v16, 0xbf788fa5, v51
	ds_write2_b32 v34, v52, v53 offset1:1
	v_pk_mul_f32 v[52:53], v[48:49], s[14:15] op_sel:[1,0]
	v_mov_b32_e32 v73, v74
	v_fmac_f32_e32 v95, 0x3eedf032, v49
	v_pk_add_f32 v[48:49], v[16:17], v[14:15]
	v_pk_add_f32 v[74:75], v[16:17], v[14:15] neg_lo:[0,1] neg_hi:[0,1]
	s_mov_b32 s50, s5
	v_mov_b32_e32 v49, v74
	v_pk_add_f32 v[48:49], v[48:49], v[10:11] op_sel_hi:[1,0]
	s_mov_b32 s51, s4
	v_pk_add_f32 v[48:49], v[54:55], v[48:49]
	v_pk_fma_f32 v[78:79], v[50:51], s[50:51], v[52:53] op_sel:[1,0,0]
	v_pk_mul_f32 v[82:83], v[36:37], s[12:13] op_sel:[1,0]
	v_pk_add_f32 v[48:49], v[56:57], v[48:49]
	v_pk_add_f32 v[78:79], v[78:79], v[10:11] op_sel_hi:[1,0]
	v_pk_fma_f32 v[86:87], v[0:1], s[20:21], v[82:83] op_sel_hi:[0,1,1]
	s_mov_b32 s57, 0x3f6f5d39
	s_mov_b32 s56, s13
	v_pk_add_f32 v[48:49], v[68:69], v[48:49]
	v_pk_add_f32 v[78:79], v[86:87], v[78:79]
	s_mov_b32 s52, s21
	s_mov_b32 s53, s20
	v_pk_mul_f32 v[86:87], v[40:41], s[56:57] op_sel:[1,0]
	v_pk_add_f32 v[48:49], v[70:71], v[48:49]
	v_pk_fma_f32 v[90:91], v[38:39], s[52:53], v[86:87] op_sel_hi:[0,1,1]
	v_pk_add_f32 v[48:49], v[72:73], v[48:49]
	v_pk_add_f32 v[78:79], v[90:91], v[78:79]
	v_pk_mul_f32 v[90:91], v[44:45], s[16:17] op_sel:[1,0]
	ds_write2_b32 v34, v48, v49 offset0:6 offset1:7
	v_pk_fma_f32 v[48:49], v[50:51], s[50:51], v[52:53] op_sel:[1,0,0] neg_lo:[0,0,1] neg_hi:[0,0,1]
	v_pk_fma_f32 v[92:93], v[42:43], s[10:11], v[90:91] op_sel_hi:[0,1,1]
	s_mov_b32 s23, s14
	v_pk_fma_f32 v[50:51], v[0:1], s[20:21], v[82:83] op_sel_hi:[0,1,1] neg_lo:[0,0,1] neg_hi:[0,0,1]
	v_pk_add_f32 v[48:49], v[48:49], v[10:11] op_sel_hi:[1,0]
	v_sub_f32_e32 v9, v47, v46
	v_add_f32_e32 v22, v95, v10
	v_pk_add_f32 v[78:79], v[92:93], v[78:79]
	v_pk_mul_f32 v[92:93], v[64:65], s[22:23] op_sel:[1,0]
	v_pk_add_f32 v[48:49], v[50:51], v[48:49]
	v_pk_fma_f32 v[50:51], v[38:39], s[52:53], v[86:87] op_sel_hi:[0,1,1] neg_lo:[0,0,1] neg_hi:[0,0,1]
	v_sub_f32_e32 v14, v77, v76
	v_add_f32_e32 v9, v9, v22
	v_pk_fma_f32 v[96:97], v[58:59], s[4:5], v[92:93] op_sel_hi:[0,1,1]
	s_mov_b32 s18, s17
	v_pk_add_f32 v[48:49], v[50:51], v[48:49]
	v_pk_fma_f32 v[50:51], v[42:43], s[10:11], v[90:91] op_sel_hi:[0,1,1] neg_lo:[0,0,1] neg_hi:[0,0,1]
	v_sub_f32_e32 v16, v81, v80
	v_add_f32_e32 v9, v14, v9
	v_pk_add_f32 v[78:79], v[96:97], v[78:79]
	s_mov_b32 s54, s11
	s_mov_b32 s55, s10
	v_pk_mul_f32 v[96:97], v[60:61], s[18:19] op_sel:[1,0]
	v_pk_add_f32 v[48:49], v[50:51], v[48:49]
	v_pk_fma_f32 v[50:51], v[58:59], s[4:5], v[92:93] op_sel_hi:[0,1,1] neg_lo:[0,0,1] neg_hi:[0,0,1]
	v_sub_f32_e32 v18, v85, v84
	v_add_f32_e32 v9, v16, v9
	v_pk_fma_f32 v[98:99], v[62:63], s[54:55], v[96:97] op_sel_hi:[0,1,1]
	v_pk_add_f32 v[48:49], v[50:51], v[48:49]
	v_sub_f32_e32 v20, v89, v88
	v_add_f32_e32 v9, v18, v9
	v_pk_fma_f32 v[50:51], v[62:63], s[54:55], v[96:97] op_sel_hi:[0,1,1] neg_lo:[0,0,1] neg_hi:[0,0,1]
	s_movk_i32 s0, 0xffd0
	v_pk_add_f32 v[78:79], v[98:99], v[78:79]
	v_add_f32_e32 v46, v20, v9
	v_pk_add_f32 v[48:49], v[50:51], v[48:49]
	v_lshl_add_u32 v9, v8, 2, v100
	v_mad_i32_i24 v30, v8, s0, v34
	ds_write2_b32 v34, v78, v79 offset0:2 offset1:3
	s_load_dwordx2 s[2:3], s[2:3], 0x0
	v_mov_b32_e32 v14, v49
	ds_write2_b32 v34, v49, v48 offset0:10 offset1:11
	ds_write_b32 v34, v46 offset:48
	s_waitcnt lgkmcnt(0)
	s_barrier
	v_add_u32_e32 v16, 0x400, v30
	ds_read_b32 v20, v9
	ds_read_b32 v22, v30 offset:1820
	ds_read2_b32 v[48:49], v30 offset0:117 offset1:169
	ds_read2_b32 v[52:53], v16 offset0:30 offset1:82
	;; [unrolled: 1-line block ×5, first 2 shown]
	v_cmp_gt_u32_e64 s[0:1], 13, v8
                                        ; implicit-def: $vgpr24
	s_and_saveexec_b64 s[58:59], s[0:1]
	s_cbranch_execz .LBB0_14
; %bb.13:
	v_add_u32_e32 v14, 0x200, v30
	ds_read2_b32 v[46:47], v14 offset0:28 offset1:197
	ds_read_b32 v24, v30 offset:1976
.LBB0_14:
	s_or_b64 exec, exec, s[58:59]
	v_add_f32_e32 v14, v29, v11
	v_mov_b32_e32 v74, v1
	v_mov_b32_e32 v75, v36
	s_mov_b32 s58, s5
	s_mov_b32 s59, s14
	v_add_f32_e32 v14, v33, v14
	v_pk_mul_f32 v[76:77], v[74:75], s[58:59]
	v_add_f32_e32 v68, v35, v14
	v_mov_b32_e32 v14, v31
	v_mov_b32_e32 v31, v76
	v_pk_add_f32 v[70:71], v[14:15], v[12:13] neg_lo:[0,1] neg_hi:[0,1]
	v_pk_fma_f32 v[74:75], v[74:75], s[58:59], v[30:31] neg_lo:[1,0,0] neg_hi:[1,0,0]
	v_add_f32_e32 v12, v76, v77
	v_mov_b32_e32 v76, v39
	v_mov_b32_e32 v77, v40
	s_mov_b32 s58, s4
	s_mov_b32 s59, s15
	v_pk_mul_f32 v[78:79], v[76:77], s[58:59]
	v_mov_b32_e32 v82, v43
	v_mov_b32_e32 v31, v78
	v_pk_fma_f32 v[76:77], v[76:77], s[58:59], v[30:31] neg_lo:[1,0,0] neg_hi:[1,0,0]
	v_mov_b32_e32 v83, v44
	s_mov_b32 s58, s20
	s_mov_b32 s59, s12
	v_pk_mul_f32 v[84:85], v[82:83], s[58:59]
	v_mov_b32_e32 v69, v13
	v_mov_b32_e32 v31, v84
	v_pk_fma_f32 v[82:83], v[82:83], s[58:59], v[30:31] neg_lo:[1,0,0] neg_hi:[1,0,0]
	v_mov_b32_e32 v88, v59
	v_mov_b32_e32 v89, v64
	s_mov_b32 s58, s10
	s_mov_b32 s59, s19
	v_pk_add_f32 v[28:29], v[28:29], v[68:69]
	v_mov_b32_e32 v66, v27
	v_mul_f32_e32 v73, 0xbeedf032, v70
	v_pk_mul_f32 v[90:91], v[88:89], s[58:59]
	v_pk_add_f32 v[68:69], v[66:67], v[28:29]
	v_mov_b32_e32 v72, v23
	v_mov_b32_e32 v31, v90
	v_pk_mul_f32 v[92:93], v[66:67], v[28:29]
	v_pk_add_f32 v[68:69], v[68:69], v[72:73]
	v_pk_fma_f32 v[66:67], v[66:67], v[28:29], v[72:73] neg_lo:[0,0,1] neg_hi:[0,0,1]
	v_pk_fma_f32 v[88:89], v[88:89], s[58:59], v[30:31] neg_lo:[1,0,0] neg_hi:[1,0,0]
	v_mov_b32_e32 v69, v67
	v_mov_b32_e32 v66, v25
	;; [unrolled: 1-line block ×3, first 2 shown]
	v_fmac_f32_e32 v93, 0xbeedf032, v70
	v_pk_add_f32 v[66:67], v[66:67], v[68:69]
	v_mov_b32_e32 v74, v21
	v_mov_b32_e32 v88, v15
	v_add_f32_e32 v15, v93, v11
	v_add_f32_e32 v33, v78, v79
	v_pk_add_f32 v[66:67], v[74:75], v[66:67]
	v_mov_b32_e32 v76, v19
	v_add_f32_e32 v12, v12, v15
	v_add_f32_e32 v35, v84, v85
	v_pk_add_f32 v[66:67], v[76:77], v[66:67]
	v_mov_b32_e32 v82, v17
	v_add_f32_e32 v12, v33, v12
	v_mov_b32_e32 v76, v63
	v_mov_b32_e32 v77, v60
	s_mov_b32 s58, s21
	s_mov_b32 s59, s13
	v_pk_add_f32 v[66:67], v[82:83], v[66:67]
	v_add_f32_e32 v12, v35, v12
	v_add_f32_e32 v15, v90, v91
	v_pk_mul_f32 v[82:83], v[76:77], s[58:59]
	v_mul_f32_e32 v14, 0xbe750f2a, v70
	v_add_f32_e32 v12, v15, v12
	v_mov_b32_e32 v15, v82
	v_pk_fma_f32 v[76:77], v[76:77], s[58:59], v[14:15] neg_lo:[1,0,0] neg_hi:[1,0,0]
	v_pk_add_f32 v[66:67], v[88:89], v[66:67]
	v_mov_b32_e32 v76, v13
	v_pk_add_f32 v[66:67], v[76:77], v[66:67]
	v_pk_mul_f32 v[76:77], v[70:71], s[14:15] op_sel_hi:[0,1]
	v_add_f32_e32 v13, v82, v83
	v_pk_mul_f32 v[82:83], v[36:37], s[12:13] op_sel_hi:[0,1]
	v_pk_fma_f32 v[98:99], v[28:29], s[50:51], v[76:77] op_sel:[1,0,0] neg_lo:[0,0,1] neg_hi:[0,0,1]
	v_pk_fma_f32 v[88:89], v[0:1], s[20:21], v[82:83] op_sel:[1,0,0] neg_lo:[0,0,1] neg_hi:[0,0,1]
	v_pk_mul_f32 v[90:91], v[40:41], s[56:57] op_sel_hi:[0,1]
	v_pk_add_f32 v[98:99], v[98:99], v[10:11] op_sel:[0,1]
	v_pk_fma_f32 v[76:77], v[28:29], s[50:51], v[76:77] op_sel:[1,0,0]
	v_pk_fma_f32 v[92:93], v[38:39], s[52:53], v[90:91] op_sel:[1,0,0] neg_lo:[0,0,1] neg_hi:[0,0,1]
	v_pk_mul_f32 v[94:95], v[44:45], s[16:17] op_sel_hi:[0,1]
	v_pk_add_f32 v[88:89], v[88:89], v[98:99]
	v_pk_fma_f32 v[82:83], v[0:1], s[20:21], v[82:83] op_sel:[1,0,0]
	v_pk_add_f32 v[76:77], v[76:77], v[10:11] op_sel:[0,1]
	v_pk_fma_f32 v[96:97], v[42:43], s[10:11], v[94:95] op_sel:[1,0,0] neg_lo:[0,0,1] neg_hi:[0,0,1]
	v_pk_add_f32 v[88:89], v[92:93], v[88:89]
	v_pk_mul_f32 v[92:93], v[64:65], s[22:23] op_sel_hi:[0,1]
	v_pk_fma_f32 v[90:91], v[38:39], s[52:53], v[90:91] op_sel:[1,0,0]
	v_pk_add_f32 v[76:77], v[82:83], v[76:77]
	v_pk_add_f32 v[88:89], v[96:97], v[88:89]
	v_pk_fma_f32 v[96:97], v[58:59], s[4:5], v[92:93] op_sel:[1,0,0] neg_lo:[0,0,1] neg_hi:[0,0,1]
	v_pk_fma_f32 v[94:95], v[42:43], s[10:11], v[94:95] op_sel:[1,0,0]
	v_pk_add_f32 v[76:77], v[90:91], v[76:77]
	v_pk_add_f32 v[88:89], v[96:97], v[88:89]
	v_pk_mul_f32 v[96:97], v[60:61], s[18:19] op_sel_hi:[0,1]
	v_pk_add_f32 v[76:77], v[94:95], v[76:77]
	v_pk_fma_f32 v[82:83], v[58:59], s[4:5], v[92:93] op_sel:[1,0,0]
	v_pk_mul_f32 v[70:71], v[70:71], s[30:31] op_sel_hi:[0,1]
	v_mul_f32_e32 v26, 0x3eedf032, v36
	v_mul_f32_e32 v68, 0xbf788fa5, v29
	v_pk_add_f32 v[76:77], v[82:83], v[76:77]
	v_pk_fma_f32 v[82:83], v[62:63], s[54:55], v[96:97] op_sel:[1,0,0]
	v_pk_mul_f32 v[36:37], v[36:37], s[34:35] op_sel_hi:[0,1]
	v_pk_fma_f32 v[94:95], v[28:29], s[40:41], v[70:71] op_sel:[1,0,0] neg_lo:[0,0,1] neg_hi:[0,0,1]
	v_pk_fma_f32 v[28:29], v[28:29], s[40:41], v[70:71] op_sel:[1,0,0]
	v_mul_f32_e32 v18, 0x3f62ad3f, v1
	v_mul_f32_e32 v80, 0xbf29c268, v40
	v_pk_add_f32 v[76:77], v[82:83], v[76:77]
	v_pk_fma_f32 v[82:83], v[0:1], s[24:25], v[36:37] op_sel:[1,0,0] neg_lo:[0,0,1] neg_hi:[0,0,1]
	v_pk_mul_f32 v[40:41], v[40:41], s[36:37] op_sel_hi:[0,1]
	v_pk_fma_f32 v[0:1], v[0:1], s[24:25], v[36:37] op_sel:[1,0,0]
	v_pk_add_f32 v[28:29], v[28:29], v[10:11] op_sel:[0,1]
	v_mul_f32_e32 v86, 0x3f52af12, v44
	v_pk_mul_f32 v[44:45], v[44:45], s[38:39] op_sel_hi:[0,1]
	v_pk_fma_f32 v[36:37], v[38:39], s[26:27], v[40:41] op_sel:[1,0,0]
	v_pk_add_f32 v[0:1], v[0:1], v[28:29]
	v_mul_f32_e32 v78, 0xbf3f9e67, v39
	v_pk_fma_f32 v[90:91], v[38:39], s[26:27], v[40:41] op_sel:[1,0,0] neg_lo:[0,0,1] neg_hi:[0,0,1]
	v_pk_fma_f32 v[38:39], v[42:43], s[28:29], v[44:45] op_sel:[1,0,0]
	v_pk_add_f32 v[0:1], v[36:37], v[0:1]
	v_mul_f32_e32 v84, 0x3f116cb1, v43
	v_pk_add_f32 v[0:1], v[38:39], v[0:1]
	v_pk_add_f32 v[38:39], v[18:19], v[26:27] neg_lo:[0,1] neg_hi:[0,1]
	v_pk_add_f32 v[18:19], v[18:19], v[26:27]
	v_pk_add_f32 v[26:27], v[78:79], v[80:81]
	v_mov_b32_e32 v39, v18
	v_pk_add_f32 v[18:19], v[78:79], v[80:81] neg_lo:[0,1] neg_hi:[0,1]
	v_pk_add_f32 v[94:95], v[94:95], v[10:11] op_sel:[0,1]
	v_mov_b32_e32 v19, v26
	v_pk_add_f32 v[26:27], v[84:85], v[86:87] neg_lo:[0,1] neg_hi:[0,1]
	v_pk_add_f32 v[40:41], v[84:85], v[86:87]
	v_pk_add_f32 v[82:83], v[82:83], v[94:95]
	v_mov_b32_e32 v27, v40
	v_pk_add_f32 v[40:41], v[68:69], v[14:15] neg_lo:[0,1] neg_hi:[0,1]
	v_pk_add_f32 v[14:15], v[68:69], v[14:15]
	v_mul_f32_e32 v74, 0xbf6f5d39, v64
	v_pk_fma_f32 v[92:93], v[42:43], s[28:29], v[44:45] op_sel:[1,0,0] neg_lo:[0,0,1] neg_hi:[0,0,1]
	v_pk_add_f32 v[82:83], v[90:91], v[82:83]
	v_pk_mul_f32 v[64:65], v[64:65], s[46:47] op_sel_hi:[0,1]
	v_mov_b32_e32 v41, v14
	v_pk_add_f32 v[82:83], v[92:93], v[82:83]
	v_pk_fma_f32 v[90:91], v[58:59], s[42:43], v[64:65] op_sel:[1,0,0] neg_lo:[0,0,1] neg_hi:[0,0,1]
	v_pk_add_f32 v[10:11], v[40:41], v[10:11] op_sel:[0,1]
	v_mul_f32_e32 v72, 0xbeb58ec6, v59
	v_pk_add_f32 v[82:83], v[90:91], v[82:83]
	v_pk_mul_f32 v[90:91], v[60:61], s[48:49] op_sel_hi:[0,1]
	v_pk_fma_f32 v[28:29], v[58:59], s[42:43], v[64:65] op_sel:[1,0,0]
	v_pk_add_f32 v[10:11], v[38:39], v[10:11]
	v_pk_add_f32 v[0:1], v[28:29], v[0:1]
	v_pk_fma_f32 v[28:29], v[62:63], s[44:45], v[90:91] op_sel:[1,0,0]
	v_pk_add_f32 v[10:11], v[18:19], v[10:11]
	v_pk_add_f32 v[14:15], v[72:73], v[74:75] neg_lo:[0,1] neg_hi:[0,1]
	v_pk_add_f32 v[18:19], v[72:73], v[74:75]
	v_pk_add_f32 v[0:1], v[28:29], v[0:1]
	v_mul_f32_e32 v28, 0x3df6dbef, v63
	v_mul_f32_e32 v36, 0x3f7e222b, v60
	v_pk_add_f32 v[10:11], v[26:27], v[10:11]
	v_mov_b32_e32 v15, v18
	v_pk_add_f32 v[10:11], v[14:15], v[10:11]
	v_pk_add_f32 v[14:15], v[28:29], v[36:37] neg_lo:[0,1] neg_hi:[0,1]
	v_pk_add_f32 v[18:19], v[28:29], v[36:37]
	v_pk_fma_f32 v[98:99], v[62:63], s[54:55], v[96:97] op_sel:[1,0,0] neg_lo:[0,0,1] neg_hi:[0,0,1]
	v_mov_b32_e32 v15, v18
	v_pk_fma_f32 v[92:93], v[62:63], s[44:45], v[90:91] op_sel:[1,0,0] neg_lo:[0,0,1] neg_hi:[0,0,1]
	v_pk_add_f32 v[10:11], v[14:15], v[10:11]
	v_add_f32_e32 v12, v13, v12
	v_pk_add_f32 v[88:89], v[98:99], v[88:89]
	v_pk_add_f32 v[82:83], v[92:93], v[82:83]
	s_waitcnt lgkmcnt(0)
	s_barrier
	ds_write2_b32 v34, v66, v67 offset1:1
	ds_write2_b32 v34, v88, v89 offset0:2 offset1:3
	ds_write2_b32 v34, v82, v83 offset0:4 offset1:5
	;; [unrolled: 1-line block ×5, first 2 shown]
	ds_write_b32 v34, v12 offset:48
	s_waitcnt lgkmcnt(0)
	s_barrier
	ds_read2_b32 v[10:11], v30 offset0:117 offset1:169
	ds_read2_b32 v[14:15], v16 offset0:30 offset1:82
	;; [unrolled: 1-line block ×5, first 2 shown]
	ds_read_b32 v27, v9
	ds_read_b32 v25, v30 offset:1820
                                        ; implicit-def: $vgpr33
	s_and_saveexec_b64 s[4:5], s[0:1]
	s_cbranch_execz .LBB0_16
; %bb.15:
	v_add_u32_e32 v12, 0x200, v30
	ds_read2_b32 v[12:13], v12 offset0:28 offset1:197
	ds_read_b32 v33, v30 offset:1976
.LBB0_16:
	s_or_b64 exec, exec, s[4:5]
	s_movk_i32 s4, 0x4f
	v_mul_lo_u16_sdwa v21, v8, s4 dst_sel:DWORD dst_unused:UNUSED_PAD src0_sel:BYTE_0 src1_sel:DWORD
	v_add_u16_e32 v26, 39, v8
	v_lshrrev_b16_e32 v44, 10, v21
	v_mul_lo_u16_sdwa v28, v26, s4 dst_sel:DWORD dst_unused:UNUSED_PAD src0_sel:BYTE_0 src1_sel:DWORD
	v_mul_lo_u16_e32 v21, 13, v44
	v_lshrrev_b16_e32 v74, 10, v28
	v_sub_u16_e32 v45, v8, v21
	v_mov_b32_e32 v21, 4
	v_mul_lo_u16_e32 v28, 13, v74
	v_lshlrev_b32_sdwa v23, v21, v45 dst_sel:DWORD dst_unused:UNUSED_PAD src0_sel:DWORD src1_sel:BYTE_0
	v_sub_u16_e32 v75, v26, v28
	v_lshlrev_b32_sdwa v26, v21, v75 dst_sel:DWORD dst_unused:UNUSED_PAD src0_sel:DWORD src1_sel:BYTE_0
	global_load_dwordx4 v[40:43], v23, s[8:9]
	global_load_dwordx4 v[58:61], v26, s[8:9]
	v_add_u16_e32 v23, 0x4e, v8
	v_mul_lo_u16_sdwa v26, v23, s4 dst_sel:DWORD dst_unused:UNUSED_PAD src0_sel:BYTE_0 src1_sel:DWORD
	v_lshrrev_b16_e32 v76, 10, v26
	v_mul_lo_u16_e32 v26, 13, v76
	v_sub_u16_e32 v77, v23, v26
	v_add_u16_e32 v26, 0x75, v8
	v_mul_lo_u16_sdwa v28, v26, s4 dst_sel:DWORD dst_unused:UNUSED_PAD src0_sel:BYTE_0 src1_sel:DWORD
	v_lshrrev_b16_e32 v78, 10, v28
	v_mul_lo_u16_e32 v28, 13, v78
	v_lshlrev_b32_sdwa v23, v21, v77 dst_sel:DWORD dst_unused:UNUSED_PAD src0_sel:DWORD src1_sel:BYTE_0
	v_sub_u16_e32 v79, v26, v28
	v_lshlrev_b32_sdwa v26, v21, v79 dst_sel:DWORD dst_unused:UNUSED_PAD src0_sel:DWORD src1_sel:BYTE_0
	global_load_dwordx4 v[62:65], v23, s[8:9]
	global_load_dwordx4 v[66:69], v26, s[8:9]
	v_add_u16_e32 v23, 0x9c, v8
	v_mul_lo_u16_sdwa v26, v23, s4 dst_sel:DWORD dst_unused:UNUSED_PAD src0_sel:BYTE_0 src1_sel:DWORD
	v_lshrrev_b16_e32 v26, 10, v26
	v_mul_lo_u16_e32 v26, 13, v26
	v_sub_u16_e32 v28, v23, v26
	v_lshlrev_b32_sdwa v21, v21, v28 dst_sel:DWORD dst_unused:UNUSED_PAD src0_sel:DWORD src1_sel:BYTE_0
	global_load_dwordx4 v[70:73], v21, s[8:9]
	s_movk_i32 s4, 0x9c
	v_lshlrev_b32_e32 v32, 2, v32
	s_waitcnt lgkmcnt(0)
	s_barrier
	s_waitcnt vmcnt(4)
	v_mul_f32_e32 v37, v11, v41
	v_mul_f32_e32 v39, v49, v41
	;; [unrolled: 1-line block ×4, first 2 shown]
	s_waitcnt vmcnt(3)
	v_mul_f32_e32 v35, v18, v59
	v_mul_f32_e32 v43, v56, v59
	;; [unrolled: 1-line block ×4, first 2 shown]
	v_fmac_f32_e32 v37, v49, v40
	v_fma_f32 v40, v11, v40, -v39
	v_fmac_f32_e32 v38, v53, v42
	v_fma_f32 v39, v16, v60, -v59
	v_fma_f32 v18, v18, v58, -v43
	s_waitcnt vmcnt(2)
	v_mul_f32_e32 v26, v19, v63
	v_mul_f32_e32 v61, v57, v63
	v_mul_f32_e32 v34, v17, v65
	v_fmac_f32_e32 v26, v57, v62
	v_fma_f32 v16, v19, v62, -v61
	v_add_f32_e32 v19, v20, v37
	v_mul_f32_e32 v63, v55, v65
	v_fmac_f32_e32 v34, v55, v64
	v_add_f32_e32 v43, v19, v38
	v_add_f32_e32 v19, v51, v26
	s_waitcnt vmcnt(1)
	v_mul_f32_e32 v21, v14, v67
	v_mul_f32_e32 v65, v52, v67
	;; [unrolled: 1-line block ×4, first 2 shown]
	s_waitcnt vmcnt(0)
	v_mul_f32_e32 v29, v13, v71
	v_mul_f32_e32 v69, v47, v71
	;; [unrolled: 1-line block ×3, first 2 shown]
	v_fmac_f32_e32 v35, v56, v58
	v_fmac_f32_e32 v36, v54, v60
	v_fma_f32 v17, v17, v64, -v63
	v_add_f32_e32 v49, v19, v34
	v_add_f32_e32 v19, v26, v34
	v_mul_f32_e32 v31, v33, v73
	v_fma_f32 v41, v15, v42, -v41
	v_fmac_f32_e32 v21, v52, v66
	v_fmac_f32_e32 v23, v22, v68
	v_fma_f32 v15, v25, v68, -v67
	v_fma_f32 v11, v13, v70, -v69
	;; [unrolled: 1-line block ×3, first 2 shown]
	v_add_f32_e32 v22, v37, v38
	v_add_f32_e32 v25, v50, v35
	;; [unrolled: 1-line block ×3, first 2 shown]
	v_fmac_f32_e32 v51, -0.5, v19
	v_sub_f32_e32 v19, v16, v17
	v_fmac_f32_e32 v20, -0.5, v22
	v_add_f32_e32 v22, v25, v36
	v_fma_f32 v25, -0.5, v33, v50
	v_fmamk_f32 v50, v19, 0xbf5db3d7, v51
	v_fmac_f32_e32 v51, 0x3f5db3d7, v19
	v_add_f32_e32 v19, v48, v21
	v_fma_f32 v14, v14, v66, -v65
	v_add_f32_e32 v52, v19, v23
	v_add_f32_e32 v19, v21, v23
	v_fmac_f32_e32 v48, -0.5, v19
	v_sub_f32_e32 v19, v14, v15
	v_fmac_f32_e32 v31, v24, v72
	v_sub_f32_e32 v24, v40, v41
	v_sub_f32_e32 v42, v18, v39
	v_fmamk_f32 v53, v19, 0xbf5db3d7, v48
	v_fmac_f32_e32 v48, 0x3f5db3d7, v19
	v_mov_b32_e32 v19, 2
	v_fmac_f32_e32 v29, v47, v70
	v_fmamk_f32 v47, v24, 0xbf5db3d7, v20
	v_fmac_f32_e32 v20, 0x3f5db3d7, v24
	v_fmamk_f32 v24, v42, 0xbf5db3d7, v25
	v_fmac_f32_e32 v25, 0x3f5db3d7, v42
	v_mad_u32_u24 v33, v44, s4, 0
	v_lshlrev_b32_sdwa v42, v19, v45 dst_sel:DWORD dst_unused:UNUSED_PAD src0_sel:DWORD src1_sel:BYTE_0
	v_add3_u32 v33, v33, v42, v32
	ds_write2_b32 v33, v43, v47 offset1:13
	ds_write_b32 v33, v20 offset:104
	v_mad_u32_u24 v20, v74, s4, 0
	v_lshlrev_b32_sdwa v42, v19, v75 dst_sel:DWORD dst_unused:UNUSED_PAD src0_sel:DWORD src1_sel:BYTE_0
	v_add3_u32 v42, v20, v42, v32
	ds_write2_b32 v42, v22, v24 offset1:13
	ds_write_b32 v42, v25 offset:104
	v_mad_u32_u24 v20, v76, s4, 0
	v_lshlrev_b32_sdwa v22, v19, v77 dst_sel:DWORD dst_unused:UNUSED_PAD src0_sel:DWORD src1_sel:BYTE_0
	v_add3_u32 v43, v20, v22, v32
	v_mad_u32_u24 v20, v78, s4, 0
	v_lshlrev_b32_sdwa v22, v19, v79 dst_sel:DWORD dst_unused:UNUSED_PAD src0_sel:DWORD src1_sel:BYTE_0
	v_add3_u32 v44, v20, v22, v32
	ds_write2_b32 v43, v49, v50 offset1:13
	ds_write_b32 v43, v51 offset:104
	ds_write2_b32 v44, v52, v53 offset1:13
	ds_write_b32 v44, v48 offset:104
	s_and_saveexec_b64 s[4:5], s[0:1]
	s_cbranch_execz .LBB0_18
; %bb.17:
	v_add_f32_e32 v20, v29, v31
	v_lshlrev_b32_sdwa v19, v19, v28 dst_sel:DWORD dst_unused:UNUSED_PAD src0_sel:DWORD src1_sel:BYTE_0
	v_fma_f32 v20, -0.5, v20, v46
	v_sub_f32_e32 v22, v11, v13
	v_add3_u32 v19, 0, v19, v32
	v_fmamk_f32 v24, v22, 0x3f5db3d7, v20
	v_fmac_f32_e32 v20, 0xbf5db3d7, v22
	v_add_f32_e32 v22, v46, v29
	v_add_f32_e32 v22, v22, v31
	v_add_u32_e32 v25, 0x400, v19
	ds_write2_b32 v25, v22, v20 offset0:212 offset1:225
	ds_write_b32 v19, v24 offset:1976
.LBB0_18:
	s_or_b64 exec, exec, s[4:5]
	v_add_f32_e32 v19, v27, v40
	v_add_f32_e32 v45, v19, v41
	;; [unrolled: 1-line block ×3, first 2 shown]
	v_fmac_f32_e32 v27, -0.5, v19
	v_sub_f32_e32 v19, v37, v38
	v_fmamk_f32 v37, v19, 0x3f5db3d7, v27
	v_fmac_f32_e32 v27, 0xbf5db3d7, v19
	v_add_f32_e32 v19, v0, v18
	v_add_f32_e32 v18, v18, v39
	;; [unrolled: 1-line block ×3, first 2 shown]
	v_fma_f32 v39, -0.5, v18, v0
	v_sub_f32_e32 v0, v35, v36
	v_fmamk_f32 v35, v0, 0x3f5db3d7, v39
	v_fmac_f32_e32 v39, 0xbf5db3d7, v0
	v_add_f32_e32 v0, v1, v16
	v_add_f32_e32 v36, v0, v17
	;; [unrolled: 1-line block ×3, first 2 shown]
	v_fmac_f32_e32 v1, -0.5, v0
	v_sub_f32_e32 v0, v26, v34
	v_fmamk_f32 v34, v0, 0x3f5db3d7, v1
	v_fmac_f32_e32 v1, 0xbf5db3d7, v0
	v_add_f32_e32 v0, v10, v14
	v_add_f32_e32 v40, v0, v15
	;; [unrolled: 1-line block ×3, first 2 shown]
	v_fmac_f32_e32 v10, -0.5, v0
	v_sub_f32_e32 v0, v21, v23
	v_fmamk_f32 v41, v0, 0x3f5db3d7, v10
	v_fmac_f32_e32 v10, 0xbf5db3d7, v0
	v_lshlrev_b32_e32 v0, 2, v8
	v_add3_u32 v15, 0, v0, v32
	v_add_u32_e32 v0, 0x200, v15
	s_waitcnt lgkmcnt(0)
	s_barrier
	ds_read2_b32 v[16:17], v0 offset0:106 offset1:145
	v_add_u32_e32 v0, 0x400, v15
	ds_read2_b32 v[20:21], v30 offset0:39 offset1:78
	ds_read2_b32 v[24:25], v15 offset0:156 offset1:195
	;; [unrolled: 1-line block ×4, first 2 shown]
	ds_read_b32 v0, v9
	ds_read_b32 v14, v30 offset:468
	ds_read_b32 v26, v15 offset:1872
	s_waitcnt lgkmcnt(0)
	s_barrier
	ds_write2_b32 v33, v45, v37 offset1:13
	ds_write_b32 v33, v27 offset:104
	ds_write2_b32 v42, v38, v35 offset1:13
	ds_write_b32 v42, v39 offset:104
	;; [unrolled: 2-line block ×4, first 2 shown]
	s_and_saveexec_b64 s[4:5], s[0:1]
	s_cbranch_execz .LBB0_20
; %bb.19:
	v_add_f32_e32 v10, v11, v13
	v_add_f32_e32 v1, v12, v11
	v_fmac_f32_e32 v12, -0.5, v10
	v_sub_f32_e32 v10, v29, v31
	v_fmamk_f32 v11, v10, 0x3f5db3d7, v12
	v_fmamk_f32 v10, v10, 0xbf5db3d7, v12
	v_mov_b32_e32 v12, 2
	v_lshlrev_b32_sdwa v12, v12, v28 dst_sel:DWORD dst_unused:UNUSED_PAD src0_sel:DWORD src1_sel:BYTE_0
	v_add3_u32 v12, 0, v12, v32
	v_add_f32_e32 v1, v1, v13
	v_add_u32_e32 v13, 0x400, v12
	ds_write2_b32 v13, v1, v11 offset0:212 offset1:225
	ds_write_b32 v12, v10 offset:1976
.LBB0_20:
	s_or_b64 exec, exec, s[4:5]
	s_waitcnt lgkmcnt(0)
	s_barrier
	s_and_saveexec_b64 s[0:1], vcc
	s_cbranch_execz .LBB0_22
; %bb.21:
	v_mul_u32_u24_e32 v1, 12, v8
	v_lshlrev_b32_e32 v1, 3, v1
	global_load_dwordx4 v[10:13], v1, s[8:9] offset:288
	global_load_dwordx4 v[32:35], v1, s[8:9] offset:272
	;; [unrolled: 1-line block ×6, first 2 shown]
	ds_read2_b32 v[28:29], v30 offset0:39 offset1:78
	ds_read_b32 v1, v9
	v_add_u32_e32 v9, 0x400, v15
	ds_read_b32 v8, v15 offset:1872
	ds_read_b32 v30, v30 offset:468
	ds_read2_b32 v[52:53], v15 offset0:156 offset1:195
	v_add_u32_e32 v15, 0x200, v15
	ds_read2_b32 v[74:75], v9 offset0:134 offset1:173
	ds_read2_b32 v[76:77], v9 offset0:56 offset1:95
	;; [unrolled: 1-line block ×3, first 2 shown]
	v_mul_lo_u32 v27, s3, v4
	v_mul_lo_u32 v31, s2, v5
	v_mad_u64_u32 v[4:5], s[0:1], s2, v4, 0
	v_add3_u32 v5, v5, v31, v27
	v_lshl_add_u64 v[4:5], v[4:5], 3, s[6:7]
	v_lshl_add_u64 v[2:3], v[2:3], 3, v[4:5]
	s_waitcnt lgkmcnt(3)
	v_mov_b32_e32 v4, v53
	s_waitcnt lgkmcnt(2)
	v_mov_b32_e32 v80, v75
	;; [unrolled: 2-line block ×3, first 2 shown]
	v_mov_b32_e32 v54, v23
	v_mov_b32_e32 v56, v23
	;; [unrolled: 1-line block ×8, first 2 shown]
	v_lshl_add_u64 v[2:3], v[6:7], 3, v[2:3]
	v_mov_b32_e32 v6, v29
	s_waitcnt lgkmcnt(0)
	v_mov_b32_e32 v84, v79
	v_mov_b32_e32 v68, v17
	;; [unrolled: 1-line block ×3, first 2 shown]
	s_mov_b32 s0, 0xbeedf032
	s_mov_b32 s4, 0x3f62ad3f
	;; [unrolled: 1-line block ×14, first 2 shown]
	s_waitcnt vmcnt(5)
	v_pk_mul_f32 v[8:9], v[8:9], v[12:13] op_sel_hi:[0,1]
	v_pk_mul_f32 v[80:81], v[80:81], v[10:11] op_sel_hi:[0,1]
	s_waitcnt vmcnt(4)
	v_pk_mul_f32 v[74:75], v[74:75], v[34:35] op_sel_hi:[0,1]
	s_waitcnt vmcnt(3)
	v_mov_b32_e32 v86, v39
	v_mov_b32_e32 v87, v38
	v_pk_mul_f32 v[24:25], v[24:25], v[38:39] op_sel_hi:[0,1]
	v_pk_mul_f32 v[38:39], v[82:83], v[32:33] op_sel_hi:[0,1]
	s_waitcnt vmcnt(2)
	v_pk_mul_f32 v[4:5], v[4:5], v[40:41] op_sel_hi:[0,1]
	s_waitcnt vmcnt(0)
	v_pk_mul_f32 v[20:21], v[20:21], v[48:49] op_sel_hi:[0,1]
	v_pk_mul_f32 v[82:83], v[84:85], v[44:45] op_sel_hi:[0,1]
	;; [unrolled: 1-line block ×3, first 2 shown]
	v_pk_fma_f32 v[84:85], v[26:27], v[12:13], v[8:9] op_sel:[0,0,1] op_sel_hi:[1,1,0]
	v_pk_fma_f32 v[8:9], v[26:27], v[12:13], v[8:9] op_sel:[0,0,1] op_sel_hi:[0,1,0] neg_lo:[1,0,0] neg_hi:[1,0,0]
	v_pk_fma_f32 v[54:55], v[54:55], v[10:11], v[80:81] op_sel:[0,0,1] op_sel_hi:[1,1,0]
	v_pk_fma_f32 v[10:11], v[56:57], v[10:11], v[80:81] op_sel:[0,0,1] op_sel_hi:[0,1,0] neg_lo:[1,0,0] neg_hi:[1,0,0]
	;; [unrolled: 2-line block ×3, first 2 shown]
	v_pk_fma_f32 v[34:35], v[52:53], v[86:87], v[24:25]
	v_pk_fma_f32 v[22:23], v[52:53], v[86:87], v[24:25] op_sel_hi:[0,1,1] neg_lo:[0,0,1] neg_hi:[0,0,1]
	v_pk_fma_f32 v[52:53], v[58:59], v[32:33], v[38:39] op_sel:[0,0,1] op_sel_hi:[1,1,0]
	v_pk_fma_f32 v[24:25], v[60:61], v[32:33], v[38:39] op_sel:[0,0,1] op_sel_hi:[0,1,0] neg_lo:[1,0,0] neg_hi:[1,0,0]
	v_pk_fma_f32 v[32:33], v[62:63], v[40:41], v[4:5] op_sel:[0,0,1] op_sel_hi:[1,1,0]
	v_pk_fma_f32 v[4:5], v[64:65], v[40:41], v[4:5] op_sel:[0,0,1] op_sel_hi:[0,1,0] neg_lo:[1,0,0] neg_hi:[1,0,0]
	;; [unrolled: 2-line block ×3, first 2 shown]
	v_pk_fma_f32 v[28:29], v[70:71], v[50:51], v[6:7] op_sel:[0,0,1] op_sel_hi:[1,1,0]
	v_mov_b32_e32 v85, v9
	v_mov_b32_e32 v33, v5
	;; [unrolled: 1-line block ×3, first 2 shown]
	v_pk_fma_f32 v[4:5], v[72:73], v[50:51], v[6:7] op_sel:[0,0,1] op_sel_hi:[0,1,0] neg_lo:[1,0,0] neg_hi:[1,0,0]
	v_pk_mul_f32 v[78:79], v[78:79], v[42:43] op_sel_hi:[0,1]
	v_pk_fma_f32 v[26:27], v[68:69], v[44:45], v[82:83] op_sel:[0,0,1] op_sel_hi:[0,1,0] neg_lo:[1,0,0] neg_hi:[1,0,0]
	v_mov_b32_e32 v29, v5
	v_pk_mul_f32 v[4:5], v[30:31], v[36:37] op_sel_hi:[0,1]
	v_pk_add_f32 v[68:69], v[40:41], v[84:85] neg_lo:[0,1] neg_hi:[0,1]
	v_pk_fma_f32 v[62:63], v[16:17], v[42:43], v[78:79] op_sel:[0,0,1] op_sel_hi:[1,1,0]
	v_pk_fma_f32 v[16:17], v[16:17], v[42:43], v[78:79] op_sel:[0,0,1] op_sel_hi:[0,1,0] neg_lo:[1,0,0] neg_hi:[1,0,0]
	v_pk_fma_f32 v[42:43], v[66:67], v[44:45], v[82:83] op_sel:[0,0,1] op_sel_hi:[1,1,0]
	v_mov_b32_e32 v55, v11
	v_pk_fma_f32 v[30:31], v[14:15], v[36:37], v[4:5] op_sel:[0,0,1] op_sel_hi:[1,1,0]
	v_pk_fma_f32 v[4:5], v[14:15], v[36:37], v[4:5] op_sel:[0,0,1] op_sel_hi:[0,1,0] neg_lo:[1,0,0] neg_hi:[1,0,0]
	v_pk_add_f32 v[66:67], v[84:85], v[40:41]
	v_pk_mul_f32 v[6:7], v[68:69], s[0:1] op_sel_hi:[1,0]
	v_mov_b32_e32 v31, v5
	v_pk_add_f32 v[72:73], v[28:29], v[54:55] neg_lo:[0,1] neg_hi:[0,1]
	v_pk_fma_f32 v[4:5], v[66:67], s[4:5], v[6:7] op_sel:[0,0,1] op_sel_hi:[1,0,0]
	v_pk_fma_f32 v[6:7], v[66:67], s[4:5], v[6:7] op_sel:[0,0,1] op_sel_hi:[1,0,0] neg_lo:[0,0,1] neg_hi:[0,0,1]
	v_pk_add_f32 v[70:71], v[54:55], v[28:29]
	v_mov_b32_e32 v8, v4
	v_mov_b32_e32 v9, v7
	v_pk_mul_f32 v[10:11], v[72:73], s[14:15] op_sel_hi:[1,0]
	v_mov_b32_e32 v81, v13
	v_pk_add_f32 v[12:13], v[0:1], v[8:9]
	v_pk_fma_f32 v[8:9], v[70:71], s[2:3], v[10:11] op_sel:[0,0,1] op_sel_hi:[1,0,0]
	v_pk_fma_f32 v[10:11], v[70:71], s[2:3], v[10:11] op_sel:[0,0,1] op_sel_hi:[1,0,0] neg_lo:[0,0,1] neg_hi:[0,0,1]
	v_pk_add_f32 v[74:75], v[30:31], v[80:81] neg_lo:[0,1] neg_hi:[0,1]
	v_mov_b32_e32 v14, v8
	v_mov_b32_e32 v15, v11
	v_pk_mul_f32 v[76:77], v[76:77], v[46:47] op_sel_hi:[0,1]
	v_mov_b32_e32 v63, v17
	v_pk_add_f32 v[36:37], v[0:1], v[40:41]
	v_pk_add_f32 v[60:61], v[80:81], v[30:31]
	;; [unrolled: 1-line block ×3, first 2 shown]
	s_mov_b32 s0, 0x3df6dbef
	v_pk_mul_f32 v[14:15], v[74:75], s[22:23] op_sel_hi:[1,0]
	v_pk_fma_f32 v[38:39], v[18:19], v[46:47], v[76:77] op_sel:[0,0,1] op_sel_hi:[1,1,0]
	v_pk_fma_f32 v[18:19], v[18:19], v[46:47], v[76:77] op_sel:[0,0,1] op_sel_hi:[0,1,0] neg_lo:[1,0,0] neg_hi:[1,0,0]
	v_mov_b32_e32 v35, v23
	v_mov_b32_e32 v53, v25
	v_pk_fma_f32 v[12:13], v[60:61], s[0:1], v[14:15] op_sel:[0,0,1] op_sel_hi:[1,0,0]
	v_pk_fma_f32 v[14:15], v[60:61], s[0:1], v[14:15] op_sel:[0,0,1] op_sel_hi:[1,0,0] neg_lo:[0,0,1] neg_hi:[0,0,1]
	v_pk_add_f32 v[28:29], v[36:37], v[28:29]
	v_mov_b32_e32 v39, v19
	v_pk_add_f32 v[58:59], v[34:35], v[52:53] neg_lo:[0,1] neg_hi:[0,1]
	v_mov_b32_e32 v18, v12
	v_mov_b32_e32 v19, v15
	v_pk_add_f32 v[28:29], v[28:29], v[30:31]
	v_pk_add_f32 v[56:57], v[52:53], v[34:35]
	;; [unrolled: 1-line block ×3, first 2 shown]
	v_pk_mul_f32 v[18:19], v[58:59], s[8:9] op_sel_hi:[1,0]
	v_pk_add_f32 v[28:29], v[28:29], v[34:35]
	v_pk_fma_f32 v[16:17], v[56:57], s[6:7], v[18:19] op_sel:[0,0,1] op_sel_hi:[1,0,0]
	v_pk_fma_f32 v[18:19], v[56:57], s[6:7], v[18:19] op_sel:[0,0,1] op_sel_hi:[1,0,0] neg_lo:[0,0,1] neg_hi:[0,0,1]
	v_pk_add_f32 v[28:29], v[28:29], v[32:33]
	v_mov_b32_e32 v43, v27
	v_pk_add_f32 v[50:51], v[32:33], v[38:39] neg_lo:[0,1] neg_hi:[0,1]
	v_mov_b32_e32 v22, v16
	v_mov_b32_e32 v23, v19
	v_pk_add_f32 v[28:29], v[28:29], v[62:63]
	v_pk_add_f32 v[48:49], v[38:39], v[32:33]
	;; [unrolled: 1-line block ×3, first 2 shown]
	v_pk_mul_f32 v[22:23], v[50:51], s[12:13] op_sel_hi:[1,0]
	v_pk_add_f32 v[28:29], v[42:43], v[28:29]
	v_pk_fma_f32 v[20:21], v[48:49], s[10:11], v[22:23] op_sel:[0,0,1] op_sel_hi:[1,0,0]
	v_pk_fma_f32 v[22:23], v[48:49], s[10:11], v[22:23] op_sel:[0,0,1] op_sel_hi:[1,0,0] neg_lo:[0,0,1] neg_hi:[0,0,1]
	v_pk_add_f32 v[28:29], v[38:39], v[28:29]
	v_pk_add_f32 v[46:47], v[62:63], v[42:43] neg_lo:[0,1] neg_hi:[0,1]
	v_mov_b32_e32 v26, v20
	v_mov_b32_e32 v27, v23
	v_pk_add_f32 v[28:29], v[52:53], v[28:29]
	v_pk_add_f32 v[40:41], v[42:43], v[62:63]
	;; [unrolled: 1-line block ×3, first 2 shown]
	v_pk_mul_f32 v[26:27], v[46:47], s[18:19] op_sel_hi:[1,0]
	v_pk_add_f32 v[28:29], v[80:81], v[28:29]
	v_pk_fma_f32 v[24:25], v[40:41], s[16:17], v[26:27] op_sel:[0,0,1] op_sel_hi:[1,0,0]
	v_pk_fma_f32 v[26:27], v[40:41], s[16:17], v[26:27] op_sel:[0,0,1] op_sel_hi:[1,0,0] neg_lo:[0,0,1] neg_hi:[0,0,1]
	v_pk_add_f32 v[28:29], v[54:55], v[28:29]
	v_mov_b32_e32 v64, v24
	v_mov_b32_e32 v65, v27
	v_pk_add_f32 v[28:29], v[84:85], v[28:29]
	v_pk_mul_f32 v[30:31], v[68:69], s[14:15] op_sel_hi:[1,0]
	v_pk_add_f32 v[44:45], v[44:45], v[64:65]
	global_store_dwordx2 v[2:3], v[28:29], off
	global_store_dwordx2 v[2:3], v[44:45], off offset:312
	v_pk_fma_f32 v[28:29], v[66:67], s[2:3], v[30:31] op_sel:[0,0,1] op_sel_hi:[1,0,0]
	v_pk_fma_f32 v[30:31], v[66:67], s[2:3], v[30:31] op_sel:[0,0,1] op_sel_hi:[1,0,0] neg_lo:[0,0,1] neg_hi:[0,0,1]
	v_mov_b32_e32 v32, v28
	v_mov_b32_e32 v33, v31
	v_pk_mul_f32 v[34:35], v[72:73], s[8:9] op_sel_hi:[1,0]
	v_pk_add_f32 v[36:37], v[0:1], v[32:33]
	v_pk_fma_f32 v[32:33], v[70:71], s[6:7], v[34:35] op_sel:[0,0,1] op_sel_hi:[1,0,0]
	v_pk_fma_f32 v[34:35], v[70:71], s[6:7], v[34:35] op_sel:[0,0,1] op_sel_hi:[1,0,0] neg_lo:[0,0,1] neg_hi:[0,0,1]
	v_mov_b32_e32 v38, v32
	v_mov_b32_e32 v39, v35
	v_pk_add_f32 v[42:43], v[36:37], v[38:39]
	v_pk_mul_f32 v[38:39], v[74:75], s[18:19] op_sel_hi:[1,0]
	v_pk_mul_f32 v[82:83], v[72:73], s[18:19] op_sel_hi:[1,0]
	v_pk_fma_f32 v[36:37], v[60:61], s[16:17], v[38:39] op_sel:[0,0,1] op_sel_hi:[1,0,0]
	v_pk_fma_f32 v[38:39], v[60:61], s[16:17], v[38:39] op_sel:[0,0,1] op_sel_hi:[1,0,0] neg_lo:[0,0,1] neg_hi:[0,0,1]
	v_mov_b32_e32 v44, v36
	v_mov_b32_e32 v45, v39
	v_pk_add_f32 v[52:53], v[42:43], v[44:45]
	v_pk_mul_f32 v[44:45], v[58:59], s[26:27] op_sel_hi:[1,0]
	v_pk_fma_f32 v[84:85], v[70:71], s[16:17], v[82:83] op_sel:[0,0,1] op_sel_hi:[1,0,0]
	v_pk_fma_f32 v[42:43], v[56:57], s[10:11], v[44:45] op_sel:[0,0,1] op_sel_hi:[1,0,0]
	v_pk_fma_f32 v[44:45], v[56:57], s[10:11], v[44:45] op_sel:[0,0,1] op_sel_hi:[1,0,0] neg_lo:[0,0,1] neg_hi:[0,0,1]
	v_mov_b32_e32 v54, v42
	v_mov_b32_e32 v55, v45
	v_pk_add_f32 v[62:63], v[52:53], v[54:55]
	v_pk_mul_f32 v[54:55], v[50:51], s[20:21] op_sel_hi:[1,0]
	v_pk_fma_f32 v[82:83], v[70:71], s[16:17], v[82:83] op_sel:[0,0,1] op_sel_hi:[1,0,0] neg_lo:[0,0,1] neg_hi:[0,0,1]
	v_pk_fma_f32 v[52:53], v[48:49], s[0:1], v[54:55] op_sel:[0,0,1] op_sel_hi:[1,0,0]
	v_pk_fma_f32 v[54:55], v[48:49], s[0:1], v[54:55] op_sel:[0,0,1] op_sel_hi:[1,0,0] neg_lo:[0,0,1] neg_hi:[0,0,1]
	v_mov_b32_e32 v64, v52
	v_mov_b32_e32 v65, v55
	v_pk_add_f32 v[76:77], v[62:63], v[64:65]
	v_pk_mul_f32 v[64:65], v[46:47], s[24:25] op_sel_hi:[1,0]
	v_mov_b32_e32 v86, v84
	v_pk_fma_f32 v[62:63], v[40:41], s[4:5], v[64:65] op_sel:[0,0,1] op_sel_hi:[1,0,0]
	v_pk_fma_f32 v[64:65], v[40:41], s[4:5], v[64:65] op_sel:[0,0,1] op_sel_hi:[1,0,0] neg_lo:[0,0,1] neg_hi:[0,0,1]
	v_mov_b32_e32 v78, v62
	v_mov_b32_e32 v79, v65
	v_pk_add_f32 v[76:77], v[76:77], v[78:79]
	global_store_dwordx2 v[2:3], v[76:77], off offset:624
	v_pk_mul_f32 v[76:77], v[68:69], s[22:23] op_sel_hi:[1,0]
	v_mov_b32_e32 v87, v83
	v_pk_fma_f32 v[78:79], v[66:67], s[0:1], v[76:77] op_sel:[0,0,1] op_sel_hi:[1,0,0]
	v_pk_fma_f32 v[76:77], v[66:67], s[0:1], v[76:77] op_sel:[0,0,1] op_sel_hi:[1,0,0] neg_lo:[0,0,1] neg_hi:[0,0,1]
	v_mov_b32_e32 v80, v78
	v_mov_b32_e32 v81, v77
	v_pk_add_f32 v[80:81], v[0:1], v[80:81]
	v_pk_mul_f32 v[106:107], v[72:73], s[26:27] op_sel_hi:[1,0]
	v_pk_add_f32 v[80:81], v[80:81], v[86:87]
	v_pk_mul_f32 v[86:87], v[74:75], s[28:29] op_sel_hi:[1,0]
	v_pk_fma_f32 v[108:109], v[70:71], s[10:11], v[106:107] op_sel:[0,0,1] op_sel_hi:[1,0,0]
	v_pk_fma_f32 v[88:89], v[60:61], s[6:7], v[86:87] op_sel:[0,0,1] op_sel_hi:[1,0,0]
	v_pk_fma_f32 v[86:87], v[60:61], s[6:7], v[86:87] op_sel:[0,0,1] op_sel_hi:[1,0,0] neg_lo:[0,0,1] neg_hi:[0,0,1]
	v_mov_b32_e32 v90, v88
	v_mov_b32_e32 v91, v87
	v_pk_add_f32 v[80:81], v[80:81], v[90:91]
	v_pk_mul_f32 v[90:91], v[58:59], s[24:25] op_sel_hi:[1,0]
	v_pk_fma_f32 v[106:107], v[70:71], s[10:11], v[106:107] op_sel:[0,0,1] op_sel_hi:[1,0,0] neg_lo:[0,0,1] neg_hi:[0,0,1]
	v_pk_fma_f32 v[92:93], v[56:57], s[4:5], v[90:91] op_sel:[0,0,1] op_sel_hi:[1,0,0]
	v_pk_fma_f32 v[90:91], v[56:57], s[4:5], v[90:91] op_sel:[0,0,1] op_sel_hi:[1,0,0] neg_lo:[0,0,1] neg_hi:[0,0,1]
	v_mov_b32_e32 v94, v92
	v_mov_b32_e32 v95, v91
	v_pk_add_f32 v[80:81], v[80:81], v[94:95]
	v_pk_mul_f32 v[94:95], v[50:51], s[14:15] op_sel_hi:[1,0]
	v_mov_b32_e32 v110, v108
	v_pk_fma_f32 v[96:97], v[48:49], s[2:3], v[94:95] op_sel:[0,0,1] op_sel_hi:[1,0,0]
	v_pk_fma_f32 v[94:95], v[48:49], s[2:3], v[94:95] op_sel:[0,0,1] op_sel_hi:[1,0,0] neg_lo:[0,0,1] neg_hi:[0,0,1]
	v_mov_b32_e32 v98, v96
	v_mov_b32_e32 v99, v95
	v_pk_add_f32 v[80:81], v[80:81], v[98:99]
	v_pk_mul_f32 v[98:99], v[46:47], s[12:13] op_sel_hi:[1,0]
	v_mov_b32_e32 v111, v107
	v_pk_fma_f32 v[100:101], v[40:41], s[10:11], v[98:99] op_sel:[0,0,1] op_sel_hi:[1,0,0]
	v_pk_fma_f32 v[98:99], v[40:41], s[10:11], v[98:99] op_sel:[0,0,1] op_sel_hi:[1,0,0] neg_lo:[0,0,1] neg_hi:[0,0,1]
	v_mov_b32_e32 v102, v100
	v_mov_b32_e32 v103, v99
	v_pk_add_f32 v[80:81], v[80:81], v[102:103]
	global_store_dwordx2 v[2:3], v[80:81], off offset:936
	v_pk_mul_f32 v[80:81], v[68:69], s[8:9] op_sel_hi:[1,0]
	s_mov_b32 s26, 0x3f52af12
	v_pk_fma_f32 v[102:103], v[66:67], s[6:7], v[80:81] op_sel:[0,0,1] op_sel_hi:[1,0,0]
	v_pk_fma_f32 v[80:81], v[66:67], s[6:7], v[80:81] op_sel:[0,0,1] op_sel_hi:[1,0,0] neg_lo:[0,0,1] neg_hi:[0,0,1]
	v_mov_b32_e32 v104, v102
	v_mov_b32_e32 v105, v81
	v_pk_add_f32 v[104:105], v[0:1], v[104:105]
	v_pk_mul_f32 v[130:131], v[72:73], s[20:21] op_sel_hi:[1,0]
	v_pk_add_f32 v[104:105], v[104:105], v[110:111]
	v_pk_mul_f32 v[110:111], v[74:75], s[24:25] op_sel_hi:[1,0]
	v_pk_fma_f32 v[132:133], v[70:71], s[0:1], v[130:131] op_sel:[0,0,1] op_sel_hi:[1,0,0]
	v_pk_fma_f32 v[112:113], v[60:61], s[4:5], v[110:111] op_sel:[0,0,1] op_sel_hi:[1,0,0]
	v_pk_fma_f32 v[110:111], v[60:61], s[4:5], v[110:111] op_sel:[0,0,1] op_sel_hi:[1,0,0] neg_lo:[0,0,1] neg_hi:[0,0,1]
	v_mov_b32_e32 v114, v112
	v_mov_b32_e32 v115, v111
	v_pk_add_f32 v[104:105], v[104:105], v[114:115]
	v_pk_mul_f32 v[114:115], v[58:59], s[22:23] op_sel_hi:[1,0]
	s_mov_b32 s22, 0x3e750f2a
	v_pk_fma_f32 v[116:117], v[56:57], s[0:1], v[114:115] op_sel:[0,0,1] op_sel_hi:[1,0,0]
	v_pk_fma_f32 v[114:115], v[56:57], s[0:1], v[114:115] op_sel:[0,0,1] op_sel_hi:[1,0,0] neg_lo:[0,0,1] neg_hi:[0,0,1]
	v_mov_b32_e32 v118, v116
	v_mov_b32_e32 v119, v115
	v_pk_add_f32 v[104:105], v[104:105], v[118:119]
	v_pk_mul_f32 v[118:119], v[50:51], s[22:23] op_sel_hi:[1,0]
	v_pk_fma_f32 v[130:131], v[70:71], s[0:1], v[130:131] op_sel:[0,0,1] op_sel_hi:[1,0,0] neg_lo:[0,0,1] neg_hi:[0,0,1]
	v_pk_fma_f32 v[120:121], v[48:49], s[16:17], v[118:119] op_sel:[0,0,1] op_sel_hi:[1,0,0]
	v_pk_fma_f32 v[118:119], v[48:49], s[16:17], v[118:119] op_sel:[0,0,1] op_sel_hi:[1,0,0] neg_lo:[0,0,1] neg_hi:[0,0,1]
	v_mov_b32_e32 v122, v120
	v_mov_b32_e32 v123, v119
	v_pk_add_f32 v[104:105], v[104:105], v[122:123]
	v_pk_mul_f32 v[122:123], v[46:47], s[26:27] op_sel_hi:[1,0]
	v_mov_b32_e32 v134, v132
	v_pk_fma_f32 v[124:125], v[40:41], s[2:3], v[122:123] op_sel:[0,0,1] op_sel_hi:[1,0,0]
	v_pk_fma_f32 v[122:123], v[40:41], s[2:3], v[122:123] op_sel:[0,0,1] op_sel_hi:[1,0,0] neg_lo:[0,0,1] neg_hi:[0,0,1]
	v_mov_b32_e32 v126, v124
	v_mov_b32_e32 v127, v123
	v_pk_add_f32 v[104:105], v[104:105], v[126:127]
	global_store_dwordx2 v[2:3], v[104:105], off offset:1248
	v_pk_mul_f32 v[104:105], v[68:69], s[12:13] op_sel_hi:[1,0]
	v_mov_b32_e32 v135, v131
	v_pk_fma_f32 v[126:127], v[66:67], s[10:11], v[104:105] op_sel:[0,0,1] op_sel_hi:[1,0,0]
	v_pk_fma_f32 v[104:105], v[66:67], s[10:11], v[104:105] op_sel:[0,0,1] op_sel_hi:[1,0,0] neg_lo:[0,0,1] neg_hi:[0,0,1]
	v_mov_b32_e32 v128, v126
	v_mov_b32_e32 v129, v105
	v_pk_add_f32 v[128:129], v[0:1], v[128:129]
	v_pk_mul_f32 v[68:69], v[68:69], s[18:19] op_sel_hi:[1,0]
	v_pk_add_f32 v[128:129], v[128:129], v[134:135]
	v_pk_mul_f32 v[134:135], v[74:75], s[14:15] op_sel_hi:[1,0]
	v_pk_mul_f32 v[74:75], v[74:75], s[12:13] op_sel_hi:[1,0]
	v_pk_fma_f32 v[136:137], v[60:61], s[2:3], v[134:135] op_sel:[0,0,1] op_sel_hi:[1,0,0]
	v_pk_fma_f32 v[134:135], v[60:61], s[2:3], v[134:135] op_sel:[0,0,1] op_sel_hi:[1,0,0] neg_lo:[0,0,1] neg_hi:[0,0,1]
	v_mov_b32_e32 v138, v136
	v_mov_b32_e32 v139, v135
	v_pk_add_f32 v[128:129], v[128:129], v[138:139]
	v_pk_mul_f32 v[138:139], v[58:59], s[22:23] op_sel_hi:[1,0]
	v_pk_mul_f32 v[58:59], v[58:59], s[26:27] op_sel_hi:[1,0]
	v_pk_fma_f32 v[140:141], v[56:57], s[16:17], v[138:139] op_sel:[0,0,1] op_sel_hi:[1,0,0]
	v_pk_fma_f32 v[138:139], v[56:57], s[16:17], v[138:139] op_sel:[0,0,1] op_sel_hi:[1,0,0] neg_lo:[0,0,1] neg_hi:[0,0,1]
	v_mov_b32_e32 v142, v140
	v_mov_b32_e32 v143, v139
	;; [unrolled: 7-line block ×4, first 2 shown]
	v_pk_add_f32 v[128:129], v[128:129], v[150:151]
	global_store_dwordx2 v[2:3], v[128:129], off offset:1560
	v_pk_fma_f32 v[128:129], v[66:67], s[16:17], v[68:69] op_sel:[0,0,1] op_sel_hi:[1,0,0]
	v_pk_fma_f32 v[66:67], v[66:67], s[16:17], v[68:69] op_sel:[0,0,1] op_sel_hi:[1,0,0] neg_lo:[0,0,1] neg_hi:[0,0,1]
	v_pk_mul_f32 v[68:69], v[72:73], s[24:25] op_sel_hi:[1,0]
	v_mov_b32_e32 v105, v127
	v_pk_fma_f32 v[72:73], v[70:71], s[4:5], v[68:69] op_sel:[0,0,1] op_sel_hi:[1,0,0]
	v_pk_fma_f32 v[68:69], v[70:71], s[4:5], v[68:69] op_sel:[0,0,1] op_sel_hi:[1,0,0] neg_lo:[0,0,1] neg_hi:[0,0,1]
	v_mov_b32_e32 v70, v128
	v_mov_b32_e32 v71, v67
	v_pk_add_f32 v[70:71], v[0:1], v[70:71]
	v_mov_b32_e32 v150, v72
	v_mov_b32_e32 v151, v69
	v_pk_add_f32 v[70:71], v[70:71], v[150:151]
	v_pk_fma_f32 v[150:151], v[60:61], s[10:11], v[74:75] op_sel:[0,0,1] op_sel_hi:[1,0,0]
	v_pk_fma_f32 v[60:61], v[60:61], s[10:11], v[74:75] op_sel:[0,0,1] op_sel_hi:[1,0,0] neg_lo:[0,0,1] neg_hi:[0,0,1]
	v_mov_b32_e32 v74, v150
	v_mov_b32_e32 v75, v61
	v_pk_add_f32 v[70:71], v[70:71], v[74:75]
	v_pk_fma_f32 v[74:75], v[56:57], s[2:3], v[58:59] op_sel:[0,0,1] op_sel_hi:[1,0,0]
	v_pk_fma_f32 v[56:57], v[56:57], s[2:3], v[58:59] op_sel:[0,0,1] op_sel_hi:[1,0,0] neg_lo:[0,0,1] neg_hi:[0,0,1]
	v_mov_b32_e32 v58, v74
	v_mov_b32_e32 v59, v57
	v_pk_add_f32 v[58:59], v[70:71], v[58:59]
	v_pk_fma_f32 v[70:71], v[48:49], s[6:7], v[50:51] op_sel:[0,0,1] op_sel_hi:[1,0,0]
	v_pk_fma_f32 v[48:49], v[48:49], s[6:7], v[50:51] op_sel:[0,0,1] op_sel_hi:[1,0,0] neg_lo:[0,0,1] neg_hi:[0,0,1]
	v_mov_b32_e32 v50, v70
	v_mov_b32_e32 v51, v49
	v_pk_add_f32 v[50:51], v[58:59], v[50:51]
	v_pk_fma_f32 v[58:59], v[40:41], s[0:1], v[46:47] op_sel:[0,0,1] op_sel_hi:[1,0,0]
	v_pk_fma_f32 v[40:41], v[40:41], s[0:1], v[46:47] op_sel:[0,0,1] op_sel_hi:[1,0,0] neg_lo:[0,0,1] neg_hi:[0,0,1]
	v_mov_b32_e32 v46, v58
	v_mov_b32_e32 v47, v41
	v_pk_add_f32 v[46:47], v[50:51], v[46:47]
	v_mov_b32_e32 v67, v129
	global_store_dwordx2 v[2:3], v[46:47], off offset:1872
	v_mov_b32_e32 v69, v73
	v_pk_add_f32 v[46:47], v[0:1], v[66:67]
	v_mov_b32_e32 v61, v151
	v_pk_add_f32 v[46:47], v[46:47], v[68:69]
	;; [unrolled: 2-line block ×6, first 2 shown]
	global_store_dwordx2 v[2:3], v[40:41], off offset:2184
	v_pk_add_f32 v[40:41], v[0:1], v[104:105]
	v_mov_b32_e32 v135, v137
	v_pk_add_f32 v[40:41], v[40:41], v[130:131]
	v_mov_b32_e32 v139, v141
	;; [unrolled: 2-line block ×5, first 2 shown]
	v_pk_add_f32 v[40:41], v[40:41], v[146:147]
	global_store_dwordx2 v[2:3], v[40:41], off offset:2496
	v_mov_b32_e32 v107, v109
	v_pk_add_f32 v[40:41], v[0:1], v[80:81]
	v_mov_b32_e32 v111, v113
	v_pk_add_f32 v[40:41], v[40:41], v[106:107]
	;; [unrolled: 2-line block ×6, first 2 shown]
	v_mov_b32_e32 v31, v29
	v_mov_b32_e32 v7, v5
	global_store_dwordx2 v[2:3], v[40:41], off offset:2808
	v_pk_add_f32 v[40:41], v[0:1], v[76:77]
	v_mov_b32_e32 v83, v85
	v_pk_add_f32 v[28:29], v[0:1], v[30:31]
	v_mov_b32_e32 v35, v33
	;; [unrolled: 2-line block ×15, first 2 shown]
	v_pk_add_f32 v[40:41], v[40:41], v[98:99]
	v_pk_add_f32 v[28:29], v[28:29], v[64:65]
	;; [unrolled: 1-line block ×3, first 2 shown]
	global_store_dwordx2 v[2:3], v[40:41], off offset:3120
	global_store_dwordx2 v[2:3], v[28:29], off offset:3432
	global_store_dwordx2 v[2:3], v[0:1], off offset:3744
.LBB0_22:
	s_endpgm
	.section	.rodata,"a",@progbits
	.p2align	6, 0x0
	.amdhsa_kernel fft_rtc_back_len507_factors_13_3_13_wgs_117_tpt_39_halfLds_sp_op_CI_CI_unitstride_sbrr_dirReg
		.amdhsa_group_segment_fixed_size 0
		.amdhsa_private_segment_fixed_size 0
		.amdhsa_kernarg_size 104
		.amdhsa_user_sgpr_count 2
		.amdhsa_user_sgpr_dispatch_ptr 0
		.amdhsa_user_sgpr_queue_ptr 0
		.amdhsa_user_sgpr_kernarg_segment_ptr 1
		.amdhsa_user_sgpr_dispatch_id 0
		.amdhsa_user_sgpr_kernarg_preload_length 0
		.amdhsa_user_sgpr_kernarg_preload_offset 0
		.amdhsa_user_sgpr_private_segment_size 0
		.amdhsa_uses_dynamic_stack 0
		.amdhsa_enable_private_segment 0
		.amdhsa_system_sgpr_workgroup_id_x 1
		.amdhsa_system_sgpr_workgroup_id_y 0
		.amdhsa_system_sgpr_workgroup_id_z 0
		.amdhsa_system_sgpr_workgroup_info 0
		.amdhsa_system_vgpr_workitem_id 0
		.amdhsa_next_free_vgpr 152
		.amdhsa_next_free_sgpr 60
		.amdhsa_accum_offset 152
		.amdhsa_reserve_vcc 1
		.amdhsa_float_round_mode_32 0
		.amdhsa_float_round_mode_16_64 0
		.amdhsa_float_denorm_mode_32 3
		.amdhsa_float_denorm_mode_16_64 3
		.amdhsa_dx10_clamp 1
		.amdhsa_ieee_mode 1
		.amdhsa_fp16_overflow 0
		.amdhsa_tg_split 0
		.amdhsa_exception_fp_ieee_invalid_op 0
		.amdhsa_exception_fp_denorm_src 0
		.amdhsa_exception_fp_ieee_div_zero 0
		.amdhsa_exception_fp_ieee_overflow 0
		.amdhsa_exception_fp_ieee_underflow 0
		.amdhsa_exception_fp_ieee_inexact 0
		.amdhsa_exception_int_div_zero 0
	.end_amdhsa_kernel
	.text
.Lfunc_end0:
	.size	fft_rtc_back_len507_factors_13_3_13_wgs_117_tpt_39_halfLds_sp_op_CI_CI_unitstride_sbrr_dirReg, .Lfunc_end0-fft_rtc_back_len507_factors_13_3_13_wgs_117_tpt_39_halfLds_sp_op_CI_CI_unitstride_sbrr_dirReg
                                        ; -- End function
	.section	.AMDGPU.csdata,"",@progbits
; Kernel info:
; codeLenInByte = 8772
; NumSgprs: 66
; NumVgprs: 152
; NumAgprs: 0
; TotalNumVgprs: 152
; ScratchSize: 0
; MemoryBound: 0
; FloatMode: 240
; IeeeMode: 1
; LDSByteSize: 0 bytes/workgroup (compile time only)
; SGPRBlocks: 8
; VGPRBlocks: 18
; NumSGPRsForWavesPerEU: 66
; NumVGPRsForWavesPerEU: 152
; AccumOffset: 152
; Occupancy: 3
; WaveLimiterHint : 1
; COMPUTE_PGM_RSRC2:SCRATCH_EN: 0
; COMPUTE_PGM_RSRC2:USER_SGPR: 2
; COMPUTE_PGM_RSRC2:TRAP_HANDLER: 0
; COMPUTE_PGM_RSRC2:TGID_X_EN: 1
; COMPUTE_PGM_RSRC2:TGID_Y_EN: 0
; COMPUTE_PGM_RSRC2:TGID_Z_EN: 0
; COMPUTE_PGM_RSRC2:TIDIG_COMP_CNT: 0
; COMPUTE_PGM_RSRC3_GFX90A:ACCUM_OFFSET: 37
; COMPUTE_PGM_RSRC3_GFX90A:TG_SPLIT: 0
	.text
	.p2alignl 6, 3212836864
	.fill 256, 4, 3212836864
	.type	__hip_cuid_c77facc9c24f3f88,@object ; @__hip_cuid_c77facc9c24f3f88
	.section	.bss,"aw",@nobits
	.globl	__hip_cuid_c77facc9c24f3f88
__hip_cuid_c77facc9c24f3f88:
	.byte	0                               ; 0x0
	.size	__hip_cuid_c77facc9c24f3f88, 1

	.ident	"AMD clang version 19.0.0git (https://github.com/RadeonOpenCompute/llvm-project roc-6.4.0 25133 c7fe45cf4b819c5991fe208aaa96edf142730f1d)"
	.section	".note.GNU-stack","",@progbits
	.addrsig
	.addrsig_sym __hip_cuid_c77facc9c24f3f88
	.amdgpu_metadata
---
amdhsa.kernels:
  - .agpr_count:     0
    .args:
      - .actual_access:  read_only
        .address_space:  global
        .offset:         0
        .size:           8
        .value_kind:     global_buffer
      - .offset:         8
        .size:           8
        .value_kind:     by_value
      - .actual_access:  read_only
        .address_space:  global
        .offset:         16
        .size:           8
        .value_kind:     global_buffer
      - .actual_access:  read_only
        .address_space:  global
        .offset:         24
        .size:           8
        .value_kind:     global_buffer
      - .actual_access:  read_only
        .address_space:  global
        .offset:         32
        .size:           8
        .value_kind:     global_buffer
      - .offset:         40
        .size:           8
        .value_kind:     by_value
      - .actual_access:  read_only
        .address_space:  global
        .offset:         48
        .size:           8
        .value_kind:     global_buffer
      - .actual_access:  read_only
        .address_space:  global
        .offset:         56
        .size:           8
        .value_kind:     global_buffer
      - .offset:         64
        .size:           4
        .value_kind:     by_value
      - .actual_access:  read_only
        .address_space:  global
        .offset:         72
        .size:           8
        .value_kind:     global_buffer
      - .actual_access:  read_only
        .address_space:  global
        .offset:         80
        .size:           8
        .value_kind:     global_buffer
      - .actual_access:  read_only
        .address_space:  global
        .offset:         88
        .size:           8
        .value_kind:     global_buffer
      - .actual_access:  write_only
        .address_space:  global
        .offset:         96
        .size:           8
        .value_kind:     global_buffer
    .group_segment_fixed_size: 0
    .kernarg_segment_align: 8
    .kernarg_segment_size: 104
    .language:       OpenCL C
    .language_version:
      - 2
      - 0
    .max_flat_workgroup_size: 117
    .name:           fft_rtc_back_len507_factors_13_3_13_wgs_117_tpt_39_halfLds_sp_op_CI_CI_unitstride_sbrr_dirReg
    .private_segment_fixed_size: 0
    .sgpr_count:     66
    .sgpr_spill_count: 0
    .symbol:         fft_rtc_back_len507_factors_13_3_13_wgs_117_tpt_39_halfLds_sp_op_CI_CI_unitstride_sbrr_dirReg.kd
    .uniform_work_group_size: 1
    .uses_dynamic_stack: false
    .vgpr_count:     152
    .vgpr_spill_count: 0
    .wavefront_size: 64
amdhsa.target:   amdgcn-amd-amdhsa--gfx950
amdhsa.version:
  - 1
  - 2
...

	.end_amdgpu_metadata
